;; amdgpu-corpus repo=ROCm/rocFFT kind=compiled arch=gfx906 opt=O3
	.text
	.amdgcn_target "amdgcn-amd-amdhsa--gfx906"
	.amdhsa_code_object_version 6
	.protected	bluestein_single_fwd_len2250_dim1_dp_op_CI_CI ; -- Begin function bluestein_single_fwd_len2250_dim1_dp_op_CI_CI
	.globl	bluestein_single_fwd_len2250_dim1_dp_op_CI_CI
	.p2align	8
	.type	bluestein_single_fwd_len2250_dim1_dp_op_CI_CI,@function
bluestein_single_fwd_len2250_dim1_dp_op_CI_CI: ; @bluestein_single_fwd_len2250_dim1_dp_op_CI_CI
; %bb.0:
	s_mov_b64 s[26:27], s[2:3]
	s_mov_b64 s[24:25], s[0:1]
	s_load_dwordx4 s[0:3], s[4:5], 0x28
	v_mul_u32_u24_e32 v1, 0x2d9, v0
	v_add_u32_sdwa v4, s6, v1 dst_sel:DWORD dst_unused:UNUSED_PAD src0_sel:DWORD src1_sel:WORD_1
	v_mov_b32_e32 v5, 0
	s_add_u32 s24, s24, s7
	s_waitcnt lgkmcnt(0)
	v_cmp_gt_u64_e32 vcc, s[0:1], v[4:5]
	s_addc_u32 s25, s25, 0
	s_and_saveexec_b64 s[0:1], vcc
	s_cbranch_execz .LBB0_31
; %bb.1:
	s_load_dwordx4 s[8:11], s[4:5], 0x18
	s_movk_i32 s0, 0x5a
	v_mul_lo_u16_sdwa v1, v1, s0 dst_sel:DWORD dst_unused:UNUSED_PAD src0_sel:WORD_1 src1_sel:DWORD
	v_sub_u16_e32 v167, v0, v1
	v_mov_b32_e32 v5, v4
	s_waitcnt lgkmcnt(0)
	s_load_dwordx4 s[12:15], s[8:9], 0x0
	buffer_store_dword v5, off, s[24:27], 0 offset:12 ; 4-byte Folded Spill
	s_nop 0
	buffer_store_dword v6, off, s[24:27], 0 offset:16 ; 4-byte Folded Spill
	v_lshlrev_b32_e32 v164, 4, v167
	s_movk_i32 s6, 0x5000
	s_waitcnt lgkmcnt(0)
	v_mad_u64_u32 v[0:1], s[0:1], s14, v4, 0
	v_mad_u64_u32 v[2:3], s[0:1], s12, v167, 0
	;; [unrolled: 1-line block ×3, first 2 shown]
	s_load_dwordx2 s[14:15], s[4:5], 0x0
	v_mad_u64_u32 v[5:6], s[0:1], s13, v167, v[3:4]
	v_mov_b32_e32 v1, v4
	v_lshlrev_b64 v[0:1], 4, v[0:1]
	v_mov_b32_e32 v6, s3
	v_mov_b32_e32 v3, v5
	v_add_co_u32_e32 v4, vcc, s2, v0
	v_addc_co_u32_e32 v5, vcc, v6, v1, vcc
	v_lshlrev_b64 v[0:1], 4, v[2:3]
	s_mul_i32 s0, s13, 0xe1
	s_mul_hi_u32 s1, s12, 0xe1
	v_add_co_u32_e32 v8, vcc, v4, v0
	s_waitcnt lgkmcnt(0)
	v_mov_b32_e32 v0, s15
	v_add_co_u32_e64 v112, s[2:3], s14, v164
	s_add_i32 s1, s1, s0
	s_mul_i32 s0, s12, 0xe1
	v_addc_co_u32_e32 v9, vcc, v5, v1, vcc
	v_addc_co_u32_e64 v113, vcc, 0, v0, s[2:3]
	s_lshl_b64 s[16:17], s[0:1], 4
	v_mov_b32_e32 v30, s17
	v_add_co_u32_e32 v10, vcc, s16, v8
	v_addc_co_u32_e32 v11, vcc, v9, v30, vcc
	v_add_co_u32_e32 v12, vcc, s16, v10
	v_addc_co_u32_e32 v13, vcc, v11, v30, vcc
	s_movk_i32 s0, 0x1000
	v_add_co_u32_e32 v18, vcc, s0, v112
	v_addc_co_u32_e32 v19, vcc, 0, v113, vcc
	v_add_co_u32_e32 v20, vcc, s16, v12
	v_addc_co_u32_e32 v21, vcc, v13, v30, vcc
	s_movk_i32 s0, 0x2000
	v_add_co_u32_e32 v16, vcc, s0, v112
	v_addc_co_u32_e32 v17, vcc, 0, v113, vcc
	s_movk_i32 s0, 0x3000
	s_movk_i32 s1, 0x4000
	v_add_co_u32_e32 v28, vcc, s0, v112
	v_add_co_u32_e64 v26, s[0:1], s1, v112
	v_addc_co_u32_e32 v29, vcc, 0, v113, vcc
	v_addc_co_u32_e64 v27, vcc, 0, v113, s[0:1]
	global_load_dwordx4 v[114:117], v164, s[14:15]
	global_load_dwordx4 v[0:3], v[8:9], off
	global_load_dwordx4 v[4:7], v[10:11], off
	global_load_dwordx4 v[118:121], v164, s[14:15] offset:3600
	global_load_dwordx4 v[122:125], v[18:19], off offset:3104
	s_movk_i32 s0, 0x6000
	global_load_dwordx4 v[8:11], v[12:13], off
	global_load_dwordx4 v[126:129], v[16:17], off offset:2608
	s_nop 0
	global_load_dwordx4 v[12:15], v[20:21], off
	v_add_co_u32_e32 v20, vcc, s16, v20
	v_addc_co_u32_e32 v21, vcc, v21, v30, vcc
	v_add_co_u32_e32 v22, vcc, s16, v20
	v_addc_co_u32_e32 v23, vcc, v21, v30, vcc
	global_load_dwordx4 v[138:141], v164, s[14:15] offset:1440
	global_load_dwordx4 v[168:171], v[28:29], off offset:2112
	global_load_dwordx4 v[150:153], v[26:27], off offset:1616
	;; [unrolled: 1-line block ×4, first 2 shown]
	global_load_dwordx4 v[34:37], v[20:21], off
	v_add_co_u32_e32 v20, vcc, s16, v22
	v_addc_co_u32_e32 v21, vcc, v23, v30, vcc
	global_load_dwordx4 v[38:41], v[22:23], off
	v_add_co_u32_e32 v22, vcc, s6, v112
	v_addc_co_u32_e32 v23, vcc, 0, v113, vcc
	;; [unrolled: 3-line block ×3, first 2 shown]
	v_add_co_u32_e32 v24, vcc, s0, v112
	v_addc_co_u32_e32 v25, vcc, 0, v113, vcc
	v_add_co_u32_e32 v31, vcc, s16, v20
	v_addc_co_u32_e32 v32, vcc, v21, v30, vcc
	s_movk_i32 s0, 0x7000
	global_load_dwordx4 v[46:49], v[20:21], off
	v_add_co_u32_e32 v20, vcc, s0, v112
	s_mul_hi_u32 s1, s12, 0xfffff871
	v_addc_co_u32_e32 v21, vcc, 0, v113, vcc
	s_mul_i32 s0, s13, 0xfffff871
	s_sub_i32 s1, s1, s12
	global_load_dwordx4 v[50:53], v[31:32], off
	v_add_co_u32_e32 v31, vcc, s16, v31
	s_add_i32 s1, s1, s0
	s_mul_i32 s0, s12, 0xfffff871
	v_addc_co_u32_e32 v32, vcc, v32, v30, vcc
	s_lshl_b64 s[0:1], s[0:1], 4
	global_load_dwordx4 v[172:175], v[22:23], off offset:1120
	global_load_dwordx4 v[154:157], v[20:21], off offset:128
	;; [unrolled: 1-line block ×3, first 2 shown]
	global_load_dwordx4 v[54:57], v[31:32], off
	global_load_dwordx4 v[142:145], v[20:21], off offset:3728
	v_mov_b32_e32 v33, s1
	v_add_co_u32_e32 v31, vcc, s0, v31
	v_addc_co_u32_e32 v32, vcc, v32, v33, vcc
	global_load_dwordx4 v[58:61], v[31:32], off
	v_add_co_u32_e32 v31, vcc, s16, v31
	v_addc_co_u32_e32 v32, vcc, v32, v30, vcc
	global_load_dwordx4 v[62:65], v[31:32], off
	;; [unrolled: 3-line block ×4, first 2 shown]
	global_load_dwordx4 v[146:149], v[16:17], off offset:4048
	v_add_co_u32_e32 v31, vcc, s16, v31
	v_addc_co_u32_e32 v32, vcc, v32, v30, vcc
	global_load_dwordx4 v[74:77], v[31:32], off
	global_load_dwordx4 v[176:179], v[28:29], off offset:3552
	v_add_co_u32_e32 v31, vcc, s16, v31
	v_addc_co_u32_e32 v32, vcc, v32, v30, vcc
	global_load_dwordx4 v[78:81], v[31:32], off
	;; [unrolled: 4-line block ×3, first 2 shown]
	global_load_dwordx4 v[184:187], v[22:23], off offset:2560
	v_add_co_u32_e32 v31, vcc, s16, v31
	v_addc_co_u32_e32 v32, vcc, v32, v30, vcc
	v_add_co_u32_e32 v94, vcc, s16, v31
	v_addc_co_u32_e32 v95, vcc, v32, v30, vcc
	global_load_dwordx4 v[86:89], v[31:32], off
	global_load_dwordx4 v[188:191], v[24:25], off offset:2064
	v_add_co_u32_e32 v32, vcc, s16, v94
	v_addc_co_u32_e32 v33, vcc, v95, v30, vcc
	s_mov_b32 s6, 0x8000
	global_load_dwordx4 v[90:93], v[94:95], off
	global_load_dwordx4 v[192:195], v[20:21], off offset:1568
	v_add_co_u32_e32 v30, vcc, s6, v112
	global_load_dwordx4 v[94:97], v[32:33], off
	s_nop 0
	buffer_store_dword v112, off, s[24:27], 0 ; 4-byte Folded Spill
	s_nop 0
	buffer_store_dword v113, off, s[24:27], 0 offset:4 ; 4-byte Folded Spill
	s_waitcnt vmcnt(39)
	v_mul_f64 v[98:99], v[2:3], v[116:117]
	s_waitcnt vmcnt(37)
	v_mul_f64 v[102:103], v[6:7], v[120:121]
	s_waitcnt vmcnt(35)
	v_mul_f64 v[106:107], v[10:11], v[124:125]
	s_waitcnt vmcnt(33)
	v_mul_f64 v[110:111], v[14:15], v[128:129]
	v_mul_f64 v[100:101], v[0:1], v[116:117]
	v_mul_f64 v[104:105], v[4:5], v[120:121]
	;; [unrolled: 1-line block ×3, first 2 shown]
	v_fma_f64 v[0:1], v[0:1], v[114:115], v[98:99]
	v_fma_f64 v[4:5], v[4:5], v[118:119], v[102:103]
	;; [unrolled: 1-line block ×3, first 2 shown]
	v_addc_co_u32_e32 v31, vcc, 0, v113, vcc
	global_load_dwordx4 v[196:199], v[30:31], off offset:1072
	s_nop 0
	buffer_store_dword v114, off, s[24:27], 0 offset:20 ; 4-byte Folded Spill
	s_nop 0
	buffer_store_dword v115, off, s[24:27], 0 offset:24 ; 4-byte Folded Spill
	buffer_store_dword v116, off, s[24:27], 0 offset:28 ; 4-byte Folded Spill
	buffer_store_dword v117, off, s[24:27], 0 offset:32 ; 4-byte Folded Spill
	buffer_store_dword v118, off, s[24:27], 0 offset:36 ; 4-byte Folded Spill
	s_nop 0
	buffer_store_dword v119, off, s[24:27], 0 offset:40 ; 4-byte Folded Spill
	buffer_store_dword v120, off, s[24:27], 0 offset:44 ; 4-byte Folded Spill
	buffer_store_dword v121, off, s[24:27], 0 offset:48 ; 4-byte Folded Spill
	;; [unrolled: 5-line block ×3, first 2 shown]
	v_mul_f64 v[112:113], v[12:13], v[128:129]
	v_fma_f64 v[12:13], v[12:13], v[126:127], v[110:111]
	buffer_store_dword v126, off, s[24:27], 0 offset:68 ; 4-byte Folded Spill
	s_nop 0
	buffer_store_dword v127, off, s[24:27], 0 offset:72 ; 4-byte Folded Spill
	buffer_store_dword v128, off, s[24:27], 0 offset:76 ; 4-byte Folded Spill
	;; [unrolled: 1-line block ×3, first 2 shown]
	s_load_dwordx2 s[6:7], s[4:5], 0x38
	s_nop 0
	s_load_dwordx4 s[8:11], s[10:11], 0x0
	v_cmp_gt_u16_e32 vcc, 45, v167
	v_fma_f64 v[2:3], v[2:3], v[114:115], -v[100:101]
	v_fma_f64 v[6:7], v[6:7], v[118:119], -v[104:105]
	v_fma_f64 v[10:11], v[10:11], v[122:123], -v[108:109]
	v_fma_f64 v[14:15], v[14:15], v[126:127], -v[112:113]
	ds_write_b128 v164, v[0:3]
	ds_write_b128 v164, v[4:7] offset:3600
	ds_write_b128 v164, v[8:11] offset:7200
	;; [unrolled: 1-line block ×3, first 2 shown]
	s_waitcnt vmcnt(44)
	v_mul_f64 v[0:1], v[36:37], v[170:171]
	s_waitcnt vmcnt(43)
	v_mul_f64 v[4:5], v[40:41], v[152:153]
	s_waitcnt vmcnt(39)
	v_mul_f64 v[8:9], v[44:45], v[174:175]
	s_waitcnt vmcnt(37)
	v_mul_f64 v[12:13], v[48:49], v[160:161]
	v_mul_f64 v[2:3], v[34:35], v[170:171]
	v_mul_f64 v[6:7], v[38:39], v[152:153]
	;; [unrolled: 1-line block ×4, first 2 shown]
	v_fma_f64 v[0:1], v[34:35], v[168:169], v[0:1]
	buffer_store_dword v168, off, s[24:27], 0 offset:212 ; 4-byte Folded Spill
	s_nop 0
	buffer_store_dword v169, off, s[24:27], 0 offset:216 ; 4-byte Folded Spill
	buffer_store_dword v170, off, s[24:27], 0 offset:220 ; 4-byte Folded Spill
	buffer_store_dword v171, off, s[24:27], 0 offset:224 ; 4-byte Folded Spill
	v_fma_f64 v[4:5], v[38:39], v[150:151], v[4:5]
	buffer_store_dword v150, off, s[24:27], 0 offset:164 ; 4-byte Folded Spill
	s_nop 0
	buffer_store_dword v151, off, s[24:27], 0 offset:168 ; 4-byte Folded Spill
	buffer_store_dword v152, off, s[24:27], 0 offset:172 ; 4-byte Folded Spill
	buffer_store_dword v153, off, s[24:27], 0 offset:176 ; 4-byte Folded Spill
	;; [unrolled: 6-line block ×4, first 2 shown]
	v_mul_f64 v[34:35], v[52:53], v[156:157]
	s_waitcnt vmcnt(51)
	v_mul_f64 v[38:39], v[56:57], v[144:145]
	s_waitcnt vmcnt(50)
	;; [unrolled: 2-line block ×3, first 2 shown]
	v_mul_f64 v[46:47], v[64:65], v[136:137]
	v_fma_f64 v[34:35], v[50:51], v[154:155], v[34:35]
	v_fma_f64 v[38:39], v[54:55], v[142:143], v[38:39]
	;; [unrolled: 1-line block ×4, first 2 shown]
	v_fma_f64 v[2:3], v[36:37], v[168:169], -v[2:3]
	v_mul_f64 v[36:37], v[50:51], v[156:157]
	buffer_store_dword v154, off, s[24:27], 0 offset:180 ; 4-byte Folded Spill
	s_nop 0
	buffer_store_dword v155, off, s[24:27], 0 offset:184 ; 4-byte Folded Spill
	buffer_store_dword v156, off, s[24:27], 0 offset:188 ; 4-byte Folded Spill
	buffer_store_dword v157, off, s[24:27], 0 offset:192 ; 4-byte Folded Spill
	v_fma_f64 v[6:7], v[40:41], v[150:151], -v[6:7]
	v_mul_f64 v[40:41], v[54:55], v[144:145]
	buffer_store_dword v142, off, s[24:27], 0 offset:132 ; 4-byte Folded Spill
	s_nop 0
	buffer_store_dword v143, off, s[24:27], 0 offset:136 ; 4-byte Folded Spill
	buffer_store_dword v144, off, s[24:27], 0 offset:140 ; 4-byte Folded Spill
	buffer_store_dword v145, off, s[24:27], 0 offset:144 ; 4-byte Folded Spill
	;; [unrolled: 7-line block ×4, first 2 shown]
	v_fma_f64 v[36:37], v[52:53], v[154:155], -v[36:37]
	v_fma_f64 v[40:41], v[56:57], v[142:143], -v[40:41]
	;; [unrolled: 1-line block ×4, first 2 shown]
	ds_write_b128 v164, v[0:3] offset:14400
	ds_write_b128 v164, v[4:7] offset:18000
	;; [unrolled: 1-line block ×8, first 2 shown]
	s_waitcnt vmcnt(62)
	v_mul_f64 v[0:1], v[68:69], v[132:133]
	v_mul_f64 v[4:5], v[72:73], v[148:149]
	s_waitcnt vmcnt(60)
	v_mul_f64 v[8:9], v[76:77], v[178:179]
	s_waitcnt vmcnt(58)
	;; [unrolled: 2-line block ×6, first 2 shown]
	v_mul_f64 v[46:47], v[96:97], v[198:199]
	v_mul_f64 v[2:3], v[66:67], v[132:133]
	v_fma_f64 v[0:1], v[66:67], v[130:131], v[0:1]
	buffer_store_dword v130, off, s[24:27], 0 offset:84 ; 4-byte Folded Spill
	s_nop 0
	buffer_store_dword v131, off, s[24:27], 0 offset:88 ; 4-byte Folded Spill
	buffer_store_dword v132, off, s[24:27], 0 offset:92 ; 4-byte Folded Spill
	buffer_store_dword v133, off, s[24:27], 0 offset:96 ; 4-byte Folded Spill
	v_mul_f64 v[6:7], v[70:71], v[148:149]
	v_fma_f64 v[4:5], v[70:71], v[146:147], v[4:5]
	buffer_store_dword v146, off, s[24:27], 0 offset:148 ; 4-byte Folded Spill
	s_nop 0
	buffer_store_dword v147, off, s[24:27], 0 offset:152 ; 4-byte Folded Spill
	buffer_store_dword v148, off, s[24:27], 0 offset:156 ; 4-byte Folded Spill
	buffer_store_dword v149, off, s[24:27], 0 offset:160 ; 4-byte Folded Spill
	;; [unrolled: 7-line block ×8, first 2 shown]
	v_fma_f64 v[2:3], v[68:69], v[130:131], -v[2:3]
	v_fma_f64 v[6:7], v[72:73], v[146:147], -v[6:7]
	;; [unrolled: 1-line block ×8, first 2 shown]
	ds_write_b128 v164, v[0:3] offset:8640
	ds_write_b128 v164, v[4:7] offset:12240
	;; [unrolled: 1-line block ×8, first 2 shown]
	s_and_saveexec_b64 s[12:13], vcc
	s_cbranch_execz .LBB0_3
; %bb.2:
	v_mov_b32_e32 v0, s1
	v_add_co_u32_e64 v4, s[0:1], s0, v32
	v_addc_co_u32_e64 v5, s[0:1], v33, v0, s[0:1]
	v_mov_b32_e32 v78, s17
	v_add_co_u32_e64 v32, s[0:1], s16, v4
	v_addc_co_u32_e64 v33, s[0:1], v5, v78, s[0:1]
	global_load_dwordx4 v[0:3], v[4:5], off
	s_nop 0
	global_load_dwordx4 v[4:7], v[32:33], off
	buffer_load_dword v8, off, s[24:27], 0  ; 4-byte Folded Reload
	buffer_load_dword v9, off, s[24:27], 0 offset:4 ; 4-byte Folded Reload
	s_waitcnt vmcnt(0)
	global_load_dwordx4 v[8:11], v[8:9], off offset:2880
	s_nop 0
	global_load_dwordx4 v[12:15], v[18:19], off offset:2384
	v_add_co_u32_e64 v18, s[0:1], s16, v32
	v_addc_co_u32_e64 v19, s[0:1], v33, v78, s[0:1]
	v_add_co_u32_e64 v44, s[0:1], s16, v18
	v_addc_co_u32_e64 v45, s[0:1], v19, v78, s[0:1]
	global_load_dwordx4 v[32:35], v[18:19], off
	global_load_dwordx4 v[36:39], v[44:45], off
	s_nop 0
	global_load_dwordx4 v[16:19], v[16:17], off offset:1888
	s_nop 0
	global_load_dwordx4 v[40:43], v[28:29], off offset:1392
	v_add_co_u32_e64 v28, s[0:1], s16, v44
	v_addc_co_u32_e64 v29, s[0:1], v45, v78, s[0:1]
	v_add_co_u32_e64 v56, s[0:1], s16, v28
	v_addc_co_u32_e64 v57, s[0:1], v29, v78, s[0:1]
	v_add_co_u32_e64 v60, s[0:1], s16, v56
	v_addc_co_u32_e64 v61, s[0:1], v57, v78, s[0:1]
	global_load_dwordx4 v[44:47], v[28:29], off
	v_add_co_u32_e64 v68, s[0:1], s16, v60
	global_load_dwordx4 v[48:51], v[56:57], off
	s_nop 0
	global_load_dwordx4 v[26:29], v[26:27], off offset:896
	s_nop 0
	global_load_dwordx4 v[52:55], v[22:23], off offset:400
	v_addc_co_u32_e64 v69, s[0:1], v61, v78, s[0:1]
	global_load_dwordx4 v[56:59], v[60:61], off
	v_add_co_u32_e64 v76, s[0:1], s16, v68
	global_load_dwordx4 v[60:63], v[68:69], off
	global_load_dwordx4 v[64:67], v[22:23], off offset:4000
	s_nop 0
	global_load_dwordx4 v[22:25], v[24:25], off offset:3504
	v_addc_co_u32_e64 v77, s[0:1], v69, v78, s[0:1]
	global_load_dwordx4 v[68:71], v[76:77], off
	global_load_dwordx4 v[72:75], v[20:21], off offset:3008
	v_add_co_u32_e64 v20, s[0:1], s16, v76
	v_addc_co_u32_e64 v21, s[0:1], v77, v78, s[0:1]
	global_load_dwordx4 v[76:79], v[30:31], off offset:2512
	global_load_dwordx4 v[80:83], v[20:21], off
	s_waitcnt vmcnt(17)
	v_mul_f64 v[20:21], v[2:3], v[10:11]
	v_mul_f64 v[10:11], v[0:1], v[10:11]
	s_waitcnt vmcnt(16)
	v_mul_f64 v[30:31], v[6:7], v[14:15]
	v_mul_f64 v[14:15], v[4:5], v[14:15]
	v_fma_f64 v[0:1], v[0:1], v[8:9], v[20:21]
	v_fma_f64 v[2:3], v[2:3], v[8:9], -v[10:11]
	s_waitcnt vmcnt(13)
	v_mul_f64 v[84:85], v[34:35], v[18:19]
	v_mul_f64 v[18:19], v[32:33], v[18:19]
	s_waitcnt vmcnt(12)
	v_mul_f64 v[86:87], v[38:39], v[42:43]
	v_mul_f64 v[42:43], v[36:37], v[42:43]
	v_fma_f64 v[4:5], v[4:5], v[12:13], v[30:31]
	v_fma_f64 v[6:7], v[6:7], v[12:13], -v[14:15]
	ds_write_b128 v164, v[0:3] offset:2880
	ds_write_b128 v164, v[4:7] offset:6480
	v_fma_f64 v[8:9], v[32:33], v[16:17], v[84:85]
	v_fma_f64 v[10:11], v[34:35], v[16:17], -v[18:19]
	v_fma_f64 v[12:13], v[36:37], v[40:41], v[86:87]
	s_waitcnt vmcnt(9)
	v_mul_f64 v[88:89], v[46:47], v[28:29]
	v_mul_f64 v[28:29], v[44:45], v[28:29]
	s_waitcnt vmcnt(8)
	v_mul_f64 v[90:91], v[50:51], v[54:55]
	v_mul_f64 v[54:55], v[48:49], v[54:55]
	v_fma_f64 v[14:15], v[38:39], v[40:41], -v[42:43]
	s_waitcnt vmcnt(5)
	v_mul_f64 v[92:93], v[58:59], v[66:67]
	v_mul_f64 v[66:67], v[56:57], v[66:67]
	s_waitcnt vmcnt(4)
	v_mul_f64 v[94:95], v[62:63], v[24:25]
	v_mul_f64 v[96:97], v[60:61], v[24:25]
	;; [unrolled: 3-line block ×3, first 2 shown]
	v_fma_f64 v[16:17], v[44:45], v[26:27], v[88:89]
	v_fma_f64 v[18:19], v[46:47], v[26:27], -v[28:29]
	v_fma_f64 v[24:25], v[48:49], v[52:53], v[90:91]
	s_waitcnt vmcnt(0)
	v_mul_f64 v[100:101], v[82:83], v[78:79]
	v_mul_f64 v[78:79], v[80:81], v[78:79]
	v_fma_f64 v[26:27], v[50:51], v[52:53], -v[54:55]
	v_fma_f64 v[28:29], v[56:57], v[64:65], v[92:93]
	v_fma_f64 v[30:31], v[58:59], v[64:65], -v[66:67]
	v_fma_f64 v[20:21], v[60:61], v[22:23], v[94:95]
	;; [unrolled: 2-line block ×4, first 2 shown]
	v_fma_f64 v[6:7], v[82:83], v[76:77], -v[78:79]
	ds_write_b128 v164, v[8:11] offset:10080
	ds_write_b128 v164, v[12:15] offset:13680
	;; [unrolled: 1-line block ×8, first 2 shown]
.LBB0_3:
	s_or_b64 exec, exec, s[12:13]
	s_waitcnt vmcnt(0) lgkmcnt(0)
	s_barrier
	ds_read_b128 v[88:91], v164 offset:3600
	ds_read_b128 v[68:71], v164 offset:1440
	;; [unrolled: 1-line block ×18, first 2 shown]
	ds_read_b128 v[116:119], v164
	ds_read_b128 v[40:43], v164 offset:33840
                                        ; implicit-def: $vgpr36_vgpr37
                                        ; implicit-def: $vgpr0_vgpr1
                                        ; implicit-def: $vgpr20_vgpr21
                                        ; implicit-def: $vgpr4_vgpr5
                                        ; implicit-def: $vgpr24_vgpr25
                                        ; implicit-def: $vgpr8_vgpr9
                                        ; implicit-def: $vgpr28_vgpr29
                                        ; implicit-def: $vgpr12_vgpr13
                                        ; implicit-def: $vgpr32_vgpr33
                                        ; implicit-def: $vgpr16_vgpr17
	s_and_saveexec_b64 s[0:1], vcc
	s_cbranch_execz .LBB0_5
; %bb.4:
	ds_read_b128 v[0:3], v164 offset:6480
	ds_read_b128 v[20:23], v164 offset:10080
	ds_read_b128 v[4:7], v164 offset:13680
	ds_read_b128 v[24:27], v164 offset:17280
	ds_read_b128 v[8:11], v164 offset:20880
	ds_read_b128 v[28:31], v164 offset:24480
	ds_read_b128 v[12:15], v164 offset:28080
	ds_read_b128 v[32:35], v164 offset:31680
	ds_read_b128 v[36:39], v164 offset:2880
	ds_read_b128 v[16:19], v164 offset:35280
.LBB0_5:
	s_or_b64 exec, exec, s[0:1]
	s_waitcnt lgkmcnt(9)
	v_add_f64 v[122:123], v[104:105], v[108:109]
	s_waitcnt lgkmcnt(1)
	v_add_f64 v[120:121], v[116:117], v[100:101]
	v_add_f64 v[124:125], v[102:103], -v[114:115]
	s_mov_b32 s16, 0x134454ff
	s_mov_b32 s17, 0x3fee6f0e
	v_add_f64 v[126:127], v[106:107], -v[110:111]
	v_add_f64 v[128:129], v[100:101], -v[104:105]
	;; [unrolled: 1-line block ×3, first 2 shown]
	v_fma_f64 v[122:123], v[122:123], -0.5, v[116:117]
	v_add_f64 v[120:121], v[120:121], v[104:105]
	v_add_f64 v[132:133], v[100:101], v[112:113]
	s_load_dwordx2 s[12:13], s[4:5], 0x8
	s_movk_i32 s4, 0xb4
	s_mov_b32 s18, 0x4755a5e
	v_add_co_u32_e64 v192, s[4:5], s4, v167
	v_fma_f64 v[134:135], v[124:125], s[16:17], v[122:123]
	s_mov_b32 s19, 0x3fe2cf23
	s_mov_b32 s5, 0xbfee6f0e
	;; [unrolled: 1-line block ×3, first 2 shown]
	v_add_f64 v[120:121], v[120:121], v[108:109]
	v_add_f64 v[128:129], v[128:129], v[130:131]
	v_fma_f64 v[116:117], v[132:133], -0.5, v[116:117]
	v_fma_f64 v[122:123], v[124:125], s[4:5], v[122:123]
	v_fma_f64 v[134:135], v[126:127], s[18:19], v[134:135]
	v_add_f64 v[136:137], v[118:119], v[102:103]
	s_movk_i32 s0, 0x5a
	v_add_co_u32_e64 v193, s[0:1], s0, v167
	v_addc_co_u32_e64 v172, s[0:1], 0, 0, s[0:1]
	s_mov_b32 s0, 0x372fe950
	s_mov_b32 s1, 0x3fd3c6ef
	;; [unrolled: 1-line block ×4, first 2 shown]
	v_add_f64 v[120:121], v[120:121], v[112:113]
	v_add_f64 v[130:131], v[106:107], v[110:111]
	v_fma_f64 v[132:133], v[128:129], s[0:1], v[134:135]
	v_fma_f64 v[134:135], v[126:127], s[4:5], v[116:117]
	v_add_f64 v[138:139], v[100:101], -v[112:113]
	v_fma_f64 v[122:123], v[126:127], s[20:21], v[122:123]
	v_add_f64 v[100:101], v[104:105], -v[100:101]
	v_add_f64 v[112:113], v[108:109], -v[112:113]
	v_fma_f64 v[116:117], v[126:127], s[16:17], v[116:117]
	v_add_f64 v[126:127], v[136:137], v[106:107]
	v_fma_f64 v[130:131], v[130:131], -0.5, v[118:119]
	v_fma_f64 v[134:135], v[124:125], s[18:19], v[134:135]
	v_add_f64 v[104:105], v[104:105], -v[108:109]
	v_add_f64 v[108:109], v[102:103], -v[106:107]
	;; [unrolled: 1-line block ×3, first 2 shown]
	v_add_f64 v[100:101], v[100:101], v[112:113]
	v_add_f64 v[112:113], v[102:103], v[114:115]
	v_fma_f64 v[116:117], v[124:125], s[20:21], v[116:117]
	v_add_f64 v[124:125], v[126:127], v[110:111]
	v_add_f64 v[126:127], v[96:97], v[84:85]
	v_fma_f64 v[136:137], v[138:139], s[4:5], v[130:131]
	v_fma_f64 v[122:123], v[128:129], s[0:1], v[122:123]
	v_add_f64 v[108:109], v[108:109], v[140:141]
	v_fma_f64 v[134:135], v[100:101], s[0:1], v[134:135]
	v_fma_f64 v[112:113], v[112:113], -0.5, v[118:119]
	v_fma_f64 v[100:101], v[100:101], s[0:1], v[116:117]
	v_add_f64 v[118:119], v[124:125], v[114:115]
	v_add_f64 v[116:117], v[88:89], v[92:93]
	v_fma_f64 v[124:125], v[126:127], -0.5, v[88:89]
	v_add_f64 v[126:127], v[94:95], -v[82:83]
	v_fma_f64 v[128:129], v[104:105], s[20:21], v[136:137]
	v_fma_f64 v[130:131], v[138:139], s[16:17], v[130:131]
	;; [unrolled: 1-line block ×3, first 2 shown]
	v_add_f64 v[102:103], v[106:107], -v[102:103]
	v_add_f64 v[106:107], v[110:111], -v[114:115]
	v_fma_f64 v[110:111], v[104:105], s[4:5], v[112:113]
	v_add_f64 v[112:113], v[116:117], v[96:97]
	v_fma_f64 v[114:115], v[126:127], s[16:17], v[124:125]
	v_add_f64 v[116:117], v[98:99], -v[86:87]
	v_add_f64 v[140:141], v[92:93], -v[96:97]
	;; [unrolled: 1-line block ×3, first 2 shown]
	v_fma_f64 v[104:105], v[104:105], s[18:19], v[130:131]
	v_add_f64 v[130:131], v[92:93], v[80:81]
	v_fma_f64 v[136:137], v[138:139], s[20:21], v[136:137]
	v_add_f64 v[102:103], v[102:103], v[106:107]
	;; [unrolled: 2-line block ×4, first 2 shown]
	v_fma_f64 v[128:129], v[108:109], s[0:1], v[128:129]
	v_fma_f64 v[138:139], v[108:109], s[0:1], v[104:105]
	v_fma_f64 v[88:89], v[130:131], -0.5, v[88:89]
	v_fma_f64 v[104:105], v[126:127], s[4:5], v[124:125]
	v_add_f64 v[108:109], v[98:99], v[86:87]
	v_fma_f64 v[124:125], v[102:103], s[0:1], v[136:137]
	v_fma_f64 v[102:103], v[102:103], s[0:1], v[106:107]
	;; [unrolled: 1-line block ×3, first 2 shown]
	v_add_f64 v[112:113], v[94:95], v[82:83]
	v_add_f64 v[110:111], v[110:111], v[80:81]
	v_fma_f64 v[130:131], v[116:117], s[4:5], v[88:89]
	v_add_f64 v[136:137], v[92:93], -v[80:81]
	v_fma_f64 v[108:109], v[108:109], -0.5, v[90:91]
	v_add_f64 v[92:93], v[96:97], -v[92:93]
	v_add_f64 v[80:81], v[84:85], -v[80:81]
	;; [unrolled: 1-line block ×3, first 2 shown]
	v_fma_f64 v[96:97], v[112:113], -0.5, v[90:91]
	v_fma_f64 v[88:89], v[116:117], s[16:17], v[88:89]
	v_add_f64 v[90:91], v[90:91], v[94:95]
	v_fma_f64 v[104:105], v[116:117], s[20:21], v[104:105]
	v_fma_f64 v[112:113], v[126:127], s[18:19], v[130:131]
	;; [unrolled: 1-line block ×3, first 2 shown]
	v_add_f64 v[130:131], v[94:95], -v[98:99]
	v_add_f64 v[140:141], v[82:83], -v[86:87]
	v_add_f64 v[80:81], v[92:93], v[80:81]
	v_fma_f64 v[92:93], v[84:85], s[16:17], v[96:97]
	v_add_f64 v[94:95], v[98:99], -v[94:95]
	v_add_f64 v[142:143], v[86:87], -v[82:83]
	v_fma_f64 v[88:89], v[126:127], s[20:21], v[88:89]
	v_add_f64 v[90:91], v[90:91], v[98:99]
	v_fma_f64 v[108:109], v[136:137], s[16:17], v[108:109]
	v_fma_f64 v[96:97], v[84:85], s[4:5], v[96:97]
	;; [unrolled: 1-line block ×3, first 2 shown]
	v_add_f64 v[116:117], v[130:131], v[140:141]
	v_fma_f64 v[92:93], v[136:137], s[20:21], v[92:93]
	v_add_f64 v[94:95], v[94:95], v[142:143]
	v_fma_f64 v[114:115], v[114:115], s[0:1], v[104:105]
	v_fma_f64 v[104:105], v[80:81], s[0:1], v[112:113]
	;; [unrolled: 1-line block ×3, first 2 shown]
	v_add_f64 v[80:81], v[90:91], v[86:87]
	v_fma_f64 v[84:85], v[84:85], s[18:19], v[108:109]
	v_fma_f64 v[86:87], v[136:137], s[18:19], v[96:97]
	s_mov_b32 s22, 0x9b97f4a8
	s_mov_b32 s23, 0x3fe9e377
	v_fma_f64 v[90:91], v[116:117], s[0:1], v[98:99]
	v_fma_f64 v[92:93], v[94:95], s[0:1], v[92:93]
	v_mul_f64 v[96:97], v[106:107], s[22:23]
	v_add_f64 v[126:127], v[80:81], v[82:83]
	v_fma_f64 v[82:83], v[116:117], s[0:1], v[84:85]
	v_fma_f64 v[84:85], v[94:95], s[0:1], v[86:87]
	v_mul_f64 v[94:95], v[88:89], s[0:1]
	v_add_f64 v[80:81], v[120:121], v[110:111]
	v_mul_f64 v[98:99], v[114:115], s[22:23]
	v_mul_f64 v[86:87], v[92:93], s[16:17]
	v_fma_f64 v[108:109], v[90:91], s[18:19], v[96:97]
	v_mul_f64 v[96:97], v[106:107], s[20:21]
	v_mul_f64 v[106:107], v[104:105], s[4:5]
	;; [unrolled: 1-line block ×4, first 2 shown]
	v_fma_f64 v[136:137], v[84:85], s[16:17], -v[94:95]
	v_fma_f64 v[140:141], v[82:83], s[18:19], -v[98:99]
	v_fma_f64 v[130:131], v[104:105], s[0:1], v[86:87]
	v_add_f64 v[104:105], v[132:133], v[108:109]
	v_fma_f64 v[142:143], v[90:91], s[22:23], v[96:97]
	v_fma_f64 v[144:145], v[92:93], s[0:1], v[106:107]
	v_fma_f64 v[146:147], v[88:89], s[4:5], -v[112:113]
	v_fma_f64 v[148:149], v[114:115], s[20:21], -v[116:117]
	v_add_f64 v[92:93], v[100:101], v[136:137]
	v_add_f64 v[88:89], v[120:121], -v[110:111]
	v_add_f64 v[110:111], v[68:69], v[60:61]
	v_add_f64 v[114:115], v[64:65], v[72:73]
	v_add_f64 v[112:113], v[100:101], -v[136:137]
	v_add_f64 v[100:101], v[60:61], v[76:77]
	v_add_f64 v[96:97], v[134:135], v[130:131]
	;; [unrolled: 1-line block ×4, first 2 shown]
	v_add_f64 v[120:121], v[132:133], -v[108:109]
	v_add_f64 v[116:117], v[134:135], -v[130:131]
	;; [unrolled: 1-line block ×3, first 2 shown]
	v_add_f64 v[126:127], v[110:111], v[64:65]
	v_fma_f64 v[130:131], v[114:115], -0.5, v[68:69]
	v_add_f64 v[132:133], v[62:63], -v[78:79]
	v_add_f64 v[118:119], v[124:125], -v[144:145]
	;; [unrolled: 1-line block ×3, first 2 shown]
	v_fma_f64 v[68:69], v[100:101], -0.5, v[68:69]
	v_add_f64 v[84:85], v[122:123], v[140:141]
	v_add_f64 v[106:107], v[128:129], v[142:143]
	;; [unrolled: 1-line block ×4, first 2 shown]
	v_add_f64 v[108:109], v[122:123], -v[140:141]
	v_add_f64 v[122:123], v[128:129], -v[142:143]
	;; [unrolled: 1-line block ×4, first 2 shown]
	v_add_f64 v[100:101], v[126:127], v[72:73]
	v_fma_f64 v[102:103], v[132:133], s[16:17], v[130:131]
	v_add_f64 v[126:127], v[60:61], -v[64:65]
	v_add_f64 v[128:129], v[76:77], -v[72:73]
	v_fma_f64 v[130:131], v[132:133], s[4:5], v[130:131]
	v_fma_f64 v[134:135], v[124:125], s[4:5], v[68:69]
	v_add_f64 v[136:137], v[64:65], -v[60:61]
	v_add_f64 v[138:139], v[72:73], -v[76:77]
	v_add_f64 v[142:143], v[66:67], v[74:75]
	v_add_f64 v[140:141], v[70:71], v[62:63]
	v_fma_f64 v[102:103], v[124:125], s[18:19], v[102:103]
	v_add_f64 v[126:127], v[126:127], v[128:129]
	v_fma_f64 v[68:69], v[124:125], s[16:17], v[68:69]
	v_fma_f64 v[124:125], v[124:125], s[20:21], v[130:131]
	;; [unrolled: 1-line block ×3, first 2 shown]
	v_add_f64 v[130:131], v[136:137], v[138:139]
	v_fma_f64 v[136:137], v[142:143], -0.5, v[70:71]
	v_add_f64 v[60:61], v[60:61], -v[76:77]
	v_add_f64 v[134:135], v[140:141], v[66:67]
	v_add_f64 v[76:77], v[100:101], v[76:77]
	v_fma_f64 v[68:69], v[132:133], s[20:21], v[68:69]
	v_fma_f64 v[100:101], v[126:127], s[0:1], v[102:103]
	;; [unrolled: 1-line block ×4, first 2 shown]
	v_add_f64 v[128:129], v[62:63], v[78:79]
	v_fma_f64 v[132:133], v[60:61], s[4:5], v[136:137]
	v_add_f64 v[64:65], v[64:65], -v[72:73]
	v_add_f64 v[72:73], v[52:53], v[44:45]
	v_add_f64 v[126:127], v[134:135], v[74:75]
	v_fma_f64 v[68:69], v[130:131], s[0:1], v[68:69]
	v_add_f64 v[130:131], v[62:63], -v[66:67]
	v_add_f64 v[134:135], v[78:79], -v[74:75]
	v_fma_f64 v[136:137], v[60:61], s[16:17], v[136:137]
	v_fma_f64 v[70:71], v[128:129], -0.5, v[70:71]
	v_fma_f64 v[128:129], v[64:65], s[20:21], v[132:133]
	v_add_f64 v[132:133], v[48:49], v[56:57]
	v_fma_f64 v[72:73], v[72:73], -0.5, v[48:49]
	s_waitcnt lgkmcnt(0)
	v_add_f64 v[138:139], v[58:59], -v[42:43]
	v_add_f64 v[126:127], v[126:127], v[78:79]
	v_add_f64 v[130:131], v[130:131], v[134:135]
	v_fma_f64 v[134:135], v[64:65], s[18:19], v[136:137]
	v_fma_f64 v[136:137], v[64:65], s[16:17], v[70:71]
	v_add_f64 v[62:63], v[66:67], -v[62:63]
	v_add_f64 v[66:67], v[74:75], -v[78:79]
	v_fma_f64 v[64:65], v[64:65], s[4:5], v[70:71]
	v_add_f64 v[70:71], v[132:133], v[52:53]
	v_fma_f64 v[74:75], v[138:139], s[16:17], v[72:73]
	v_add_f64 v[78:79], v[54:55], -v[46:47]
	v_add_f64 v[132:133], v[56:57], -v[52:53]
	;; [unrolled: 1-line block ×3, first 2 shown]
	v_fma_f64 v[136:137], v[60:61], s[20:21], v[136:137]
	v_add_f64 v[62:63], v[62:63], v[66:67]
	v_fma_f64 v[142:143], v[130:131], s[0:1], v[128:129]
	v_fma_f64 v[60:61], v[60:61], s[18:19], v[64:65]
	v_add_f64 v[64:65], v[70:71], v[44:45]
	v_fma_f64 v[66:67], v[78:79], s[18:19], v[74:75]
	v_add_f64 v[74:75], v[56:57], v[40:41]
	v_add_f64 v[70:71], v[132:133], v[140:141]
	;; [unrolled: 1-line block ×3, first 2 shown]
	v_fma_f64 v[130:131], v[130:131], s[0:1], v[134:135]
	v_fma_f64 v[132:133], v[62:63], s[0:1], v[136:137]
	v_fma_f64 v[72:73], v[138:139], s[4:5], v[72:73]
	v_fma_f64 v[134:135], v[62:63], s[0:1], v[60:61]
	v_add_f64 v[136:137], v[64:65], v[40:41]
	v_fma_f64 v[48:49], v[74:75], -0.5, v[48:49]
	v_fma_f64 v[62:63], v[70:71], s[0:1], v[66:67]
	v_add_f64 v[64:65], v[52:53], -v[44:45]
	v_fma_f64 v[66:67], v[128:129], -0.5, v[50:51]
	v_add_f64 v[60:61], v[54:55], v[46:47]
	v_fma_f64 v[72:73], v[78:79], s[20:21], v[72:73]
	v_add_f64 v[52:53], v[52:53], -v[56:57]
	v_add_f64 v[44:45], v[44:45], -v[40:41]
	;; [unrolled: 1-line block ×3, first 2 shown]
	v_fma_f64 v[56:57], v[78:79], s[4:5], v[48:49]
	v_fma_f64 v[48:49], v[78:79], s[16:17], v[48:49]
	;; [unrolled: 1-line block ×3, first 2 shown]
	v_add_f64 v[78:79], v[54:55], -v[58:59]
	v_add_f64 v[128:129], v[46:47], -v[42:43]
	v_fma_f64 v[60:61], v[60:61], -0.5, v[50:51]
	v_add_f64 v[50:51], v[50:51], v[58:59]
	v_add_f64 v[44:45], v[52:53], v[44:45]
	v_add_f64 v[58:59], v[58:59], -v[54:55]
	v_add_f64 v[140:141], v[42:43], -v[46:47]
	v_fma_f64 v[74:75], v[40:41], s[20:21], v[74:75]
	v_fma_f64 v[48:49], v[138:139], s[20:21], v[48:49]
	v_add_f64 v[78:79], v[78:79], v[128:129]
	v_fma_f64 v[52:53], v[40:41], s[4:5], v[60:61]
	v_add_f64 v[50:51], v[50:51], v[54:55]
	v_fma_f64 v[54:55], v[40:41], s[16:17], v[60:61]
	v_fma_f64 v[60:61], v[64:65], s[4:5], v[66:67]
	;; [unrolled: 1-line block ×4, first 2 shown]
	v_add_f64 v[58:59], v[58:59], v[140:141]
	v_fma_f64 v[70:71], v[78:79], s[0:1], v[74:75]
	v_fma_f64 v[52:53], v[64:65], s[20:21], v[52:53]
	v_add_f64 v[46:47], v[50:51], v[46:47]
	v_fma_f64 v[50:51], v[64:65], s[18:19], v[54:55]
	v_fma_f64 v[40:41], v[40:41], s[18:19], v[60:61]
	;; [unrolled: 1-line block ×4, first 2 shown]
	v_mul_f64 v[54:55], v[62:63], s[22:23]
	v_mul_f64 v[56:57], v[70:71], s[16:17]
	v_fma_f64 v[52:53], v[58:59], s[0:1], v[52:53]
	v_add_f64 v[42:43], v[46:47], v[42:43]
	v_fma_f64 v[58:59], v[58:59], s[0:1], v[50:51]
	v_fma_f64 v[40:41], v[78:79], s[0:1], v[40:41]
	v_mul_f64 v[50:51], v[48:49], s[0:1]
	v_add_f64 v[46:47], v[76:77], v[136:137]
	v_fma_f64 v[74:75], v[44:45], s[0:1], v[56:57]
	v_mul_f64 v[44:45], v[44:45], s[4:5]
	v_fma_f64 v[72:73], v[52:53], s[18:19], v[54:55]
	v_mul_f64 v[54:55], v[66:67], s[22:23]
	v_mul_f64 v[56:57], v[62:63], s[20:21]
	;; [unrolled: 1-line block ×4, first 2 shown]
	v_fma_f64 v[40:41], v[40:41], s[16:17], -v[50:51]
	s_barrier
	v_fma_f64 v[44:45], v[70:71], s[0:1], v[44:45]
	v_add_f64 v[70:71], v[36:37], v[20:21]
	v_fma_f64 v[78:79], v[58:59], s[18:19], -v[54:55]
	v_add_f64 v[54:55], v[124:125], v[74:75]
	v_add_f64 v[74:75], v[124:125], -v[74:75]
	v_fma_f64 v[144:145], v[66:67], s[20:21], -v[62:63]
	v_add_f64 v[58:59], v[68:69], v[40:41]
	v_add_f64 v[66:67], v[76:77], -v[136:137]
	v_add_f64 v[136:137], v[24:25], v[28:29]
	v_add_f64 v[76:77], v[70:71], v[24:25]
	v_add_f64 v[124:125], v[68:69], -v[40:41]
	v_add_f64 v[40:41], v[20:21], v[32:33]
	v_add_f64 v[50:51], v[100:101], v[72:73]
	v_fma_f64 v[138:139], v[52:53], s[22:23], v[56:57]
	v_fma_f64 v[140:141], v[48:49], s[4:5], -v[60:61]
	v_add_f64 v[62:63], v[102:103], v[78:79]
	v_add_f64 v[48:49], v[126:127], v[42:43]
	;; [unrolled: 1-line block ×3, first 2 shown]
	v_add_f64 v[70:71], v[100:101], -v[72:73]
	v_add_f64 v[128:129], v[102:103], -v[78:79]
	;; [unrolled: 1-line block ×3, first 2 shown]
	v_add_f64 v[42:43], v[76:77], v[28:29]
	v_fma_f64 v[78:79], v[136:137], -0.5, v[36:37]
	v_add_f64 v[100:101], v[22:23], -v[34:35]
	v_add_f64 v[76:77], v[132:133], -v[44:45]
	v_add_f64 v[44:45], v[26:27], -v[30:31]
	v_fma_f64 v[40:41], v[40:41], -0.5, v[36:37]
	v_add_f64 v[52:53], v[142:143], v[138:139]
	v_add_f64 v[60:61], v[134:135], v[140:141]
	v_add_f64 v[72:73], v[142:143], -v[138:139]
	v_add_f64 v[126:127], v[134:135], -v[140:141]
	v_add_f64 v[36:37], v[42:43], v[32:33]
	v_fma_f64 v[42:43], v[100:101], s[16:17], v[78:79]
	v_add_f64 v[102:103], v[20:21], -v[24:25]
	v_add_f64 v[132:133], v[38:39], v[22:23]
	v_add_f64 v[134:135], v[32:33], -v[28:29]
	v_fma_f64 v[78:79], v[100:101], s[4:5], v[78:79]
	v_fma_f64 v[136:137], v[44:45], s[4:5], v[40:41]
	v_add_f64 v[138:139], v[24:25], -v[20:21]
	v_add_f64 v[140:141], v[28:29], -v[32:33]
	v_fma_f64 v[40:41], v[44:45], s[16:17], v[40:41]
	v_fma_f64 v[42:43], v[44:45], s[18:19], v[42:43]
	v_add_f64 v[132:133], v[132:133], v[26:27]
	v_add_f64 v[142:143], v[26:27], v[30:31]
	;; [unrolled: 1-line block ×3, first 2 shown]
	v_fma_f64 v[44:45], v[44:45], s[20:21], v[78:79]
	v_fma_f64 v[78:79], v[100:101], s[18:19], v[136:137]
	v_add_f64 v[134:135], v[138:139], v[140:141]
	v_fma_f64 v[100:101], v[100:101], s[20:21], v[40:41]
	v_add_f64 v[136:137], v[22:23], v[34:35]
	v_add_f64 v[132:133], v[132:133], v[30:31]
	v_fma_f64 v[138:139], v[142:143], -0.5, v[38:39]
	v_add_f64 v[32:33], v[20:21], -v[32:33]
	v_fma_f64 v[20:21], v[102:103], s[0:1], v[42:43]
	v_add_f64 v[28:29], v[24:25], -v[28:29]
	v_fma_f64 v[102:103], v[102:103], s[0:1], v[44:45]
	v_fma_f64 v[24:25], v[134:135], s[0:1], v[100:101]
	v_fma_f64 v[42:43], v[136:137], -0.5, v[38:39]
	v_add_f64 v[100:101], v[8:9], v[12:13]
	v_fma_f64 v[40:41], v[134:135], s[0:1], v[78:79]
	v_add_f64 v[38:39], v[132:133], v[34:35]
	v_fma_f64 v[44:45], v[32:33], s[4:5], v[138:139]
	v_add_f64 v[78:79], v[22:23], -v[26:27]
	v_add_f64 v[132:133], v[34:35], -v[30:31]
	v_fma_f64 v[134:135], v[32:33], s[16:17], v[138:139]
	v_fma_f64 v[136:137], v[28:29], s[16:17], v[42:43]
	v_add_f64 v[22:23], v[26:27], -v[22:23]
	v_add_f64 v[26:27], v[30:31], -v[34:35]
	v_fma_f64 v[30:31], v[28:29], s[4:5], v[42:43]
	v_add_f64 v[34:35], v[0:1], v[4:5]
	v_fma_f64 v[100:101], v[100:101], -0.5, v[0:1]
	v_add_f64 v[138:139], v[6:7], -v[18:19]
	v_fma_f64 v[42:43], v[28:29], s[20:21], v[44:45]
	v_add_f64 v[44:45], v[78:79], v[132:133]
	v_fma_f64 v[28:29], v[28:29], s[18:19], v[134:135]
	v_fma_f64 v[78:79], v[32:33], s[20:21], v[136:137]
	v_add_f64 v[132:133], v[22:23], v[26:27]
	v_add_f64 v[26:27], v[34:35], v[8:9]
	v_fma_f64 v[30:31], v[32:33], s[18:19], v[30:31]
	v_fma_f64 v[32:33], v[138:139], s[16:17], v[100:101]
	v_add_f64 v[34:35], v[4:5], v[16:17]
	v_add_f64 v[134:135], v[10:11], -v[14:15]
	v_add_f64 v[136:137], v[4:5], -v[8:9]
	;; [unrolled: 1-line block ×3, first 2 shown]
	v_fma_f64 v[22:23], v[44:45], s[0:1], v[42:43]
	v_add_f64 v[42:43], v[26:27], v[12:13]
	v_fma_f64 v[142:143], v[44:45], s[0:1], v[28:29]
	v_fma_f64 v[26:27], v[132:133], s[0:1], v[78:79]
	v_fma_f64 v[0:1], v[34:35], -0.5, v[0:1]
	v_fma_f64 v[28:29], v[134:135], s[18:19], v[32:33]
	v_add_f64 v[32:33], v[10:11], v[14:15]
	v_add_f64 v[78:79], v[6:7], v[18:19]
	v_fma_f64 v[44:45], v[132:133], s[0:1], v[30:31]
	v_add_f64 v[30:31], v[136:137], v[140:141]
	v_fma_f64 v[34:35], v[138:139], s[4:5], v[100:101]
	v_add_f64 v[132:133], v[8:9], -v[4:5]
	v_fma_f64 v[100:101], v[134:135], s[4:5], v[0:1]
	v_add_f64 v[136:137], v[12:13], -v[16:17]
	v_fma_f64 v[32:33], v[32:33], -0.5, v[2:3]
	v_add_f64 v[4:5], v[4:5], -v[16:17]
	v_add_f64 v[8:9], v[8:9], -v[12:13]
	v_fma_f64 v[12:13], v[78:79], -0.5, v[2:3]
	v_add_f64 v[2:3], v[2:3], v[6:7]
	v_add_f64 v[64:65], v[130:131], v[144:145]
	v_add_f64 v[130:131], v[130:131], -v[144:145]
	v_add_f64 v[42:43], v[42:43], v[16:17]
	v_fma_f64 v[16:17], v[134:135], s[20:21], v[34:35]
	v_fma_f64 v[34:35], v[138:139], s[18:19], v[100:101]
	v_add_f64 v[78:79], v[132:133], v[136:137]
	v_add_f64 v[100:101], v[6:7], -v[10:11]
	v_add_f64 v[132:133], v[18:19], -v[14:15]
	v_fma_f64 v[136:137], v[4:5], s[16:17], v[32:33]
	v_fma_f64 v[140:141], v[8:9], s[16:17], v[12:13]
	v_add_f64 v[6:7], v[10:11], -v[6:7]
	v_add_f64 v[144:145], v[14:15], -v[18:19]
	v_fma_f64 v[0:1], v[134:135], s[16:17], v[0:1]
	v_add_f64 v[2:3], v[2:3], v[10:11]
	v_fma_f64 v[10:11], v[4:5], s[4:5], v[32:33]
	v_fma_f64 v[12:13], v[8:9], s[4:5], v[12:13]
	v_add_f64 v[32:33], v[100:101], v[132:133]
	v_fma_f64 v[100:101], v[8:9], s[18:19], v[136:137]
	;; [unrolled: 3-line block ×3, first 2 shown]
	v_fma_f64 v[16:17], v[30:31], s[0:1], v[16:17]
	v_fma_f64 v[8:9], v[8:9], s[20:21], v[10:11]
	v_fma_f64 v[10:11], v[4:5], s[18:19], v[12:13]
	v_fma_f64 v[28:29], v[30:31], s[0:1], v[28:29]
	v_add_f64 v[2:3], v[2:3], v[14:15]
	v_fma_f64 v[12:13], v[32:33], s[0:1], v[100:101]
	v_fma_f64 v[14:15], v[78:79], s[0:1], v[34:35]
	;; [unrolled: 1-line block ×4, first 2 shown]
	v_mul_f64 v[0:1], v[16:17], s[22:23]
	v_fma_f64 v[10:11], v[6:7], s[0:1], v[10:11]
	v_add_f64 v[4:5], v[2:3], v[18:19]
	v_fma_f64 v[2:3], v[32:33], s[0:1], v[8:9]
	v_mul_f64 v[6:7], v[12:13], s[22:23]
	v_mul_f64 v[8:9], v[28:29], s[22:23]
	;; [unrolled: 1-line block ×4, first 2 shown]
	v_fma_f64 v[78:79], v[12:13], s[18:19], -v[0:1]
	v_mul_f64 v[12:13], v[28:29], s[20:21]
	v_mul_f64 v[28:29], v[14:15], s[4:5]
	;; [unrolled: 1-line block ×3, first 2 shown]
	v_fma_f64 v[132:133], v[16:17], s[20:21], -v[6:7]
	v_fma_f64 v[6:7], v[2:3], s[18:19], v[8:9]
	v_fma_f64 v[8:9], v[14:15], s[0:1], v[18:19]
	v_fma_f64 v[10:11], v[10:11], s[16:17], -v[32:33]
	v_add_f64 v[0:1], v[102:103], v[78:79]
	v_fma_f64 v[12:13], v[2:3], s[22:23], v[12:13]
	v_fma_f64 v[14:15], v[30:31], s[0:1], v[28:29]
	v_fma_f64 v[16:17], v[34:35], s[4:5], -v[100:101]
	v_add_f64 v[2:3], v[142:143], v[132:133]
	v_add_f64 v[28:29], v[36:37], -v[42:43]
	v_add_f64 v[32:33], v[20:21], -v[6:7]
	;; [unrolled: 1-line block ×10, first 2 shown]
	v_mul_lo_u16_e32 v18, 10, v167
	v_lshlrev_b32_e32 v18, 4, v18
	ds_write_b128 v18, v[80:83]
	ds_write_b128 v18, v[104:107] offset:16
	ds_write_b128 v18, v[96:99] offset:32
	;; [unrolled: 1-line block ×8, first 2 shown]
	buffer_store_dword v18, off, s[24:27], 0 offset:588 ; 4-byte Folded Spill
	ds_write_b128 v18, v[108:111] offset:144
	v_mul_u32_u24_e32 v18, 10, v193
	v_lshlrev_b32_e32 v165, 4, v18
	v_mul_u32_u24_e32 v18, 10, v192
	ds_write_b128 v165, v[46:49]
	ds_write_b128 v165, v[50:53] offset:16
	ds_write_b128 v165, v[54:57] offset:32
	;; [unrolled: 1-line block ×9, first 2 shown]
	buffer_store_dword v18, off, s[24:27], 0 offset:1296 ; 4-byte Folded Spill
	s_and_saveexec_b64 s[0:1], vcc
	s_cbranch_execz .LBB0_7
; %bb.6:
	v_add_f64 v[38:39], v[38:39], v[4:5]
	v_add_f64 v[36:37], v[36:37], v[42:43]
	;; [unrolled: 1-line block ×8, first 2 shown]
	v_mul_u32_u24_e32 v4, 10, v192
	v_lshlrev_b32_e32 v4, 4, v4
	ds_write_b128 v4, v[36:39]
	ds_write_b128 v4, v[20:23] offset:16
	ds_write_b128 v4, v[42:45] offset:32
	;; [unrolled: 1-line block ×9, first 2 shown]
.LBB0_7:
	s_or_b64 exec, exec, s[0:1]
	s_waitcnt vmcnt(0) lgkmcnt(0)
	s_barrier
	ds_read_b128 v[36:39], v164 offset:1440
	ds_read_b128 v[24:27], v164 offset:2880
	;; [unrolled: 1-line block ×22, first 2 shown]
	ds_read_b128 v[40:43], v164
	ds_read_b128 v[44:47], v164 offset:34080
	v_cmp_gt_u16_e64 s[0:1], 30, v167
	s_and_saveexec_b64 s[4:5], s[0:1]
	s_cbranch_execz .LBB0_9
; %bb.8:
	ds_read_b128 v[28:31], v164 offset:23520
	ds_read_b128 v[0:3], v164 offset:11520
	;; [unrolled: 1-line block ×3, first 2 shown]
.LBB0_9:
	s_or_b64 exec, exec, s[4:5]
	s_movk_i32 s4, 0x10e
	v_add_co_u32_e64 v122, s[4:5], s4, v167
	v_addc_co_u32_e64 v123, s[4:5], 0, 0, s[4:5]
	s_movk_i32 s4, 0x168
	v_add_co_u32_e64 v120, s[4:5], s4, v167
	v_addc_co_u32_e64 v121, s[4:5], 0, 0, s[4:5]
	s_movk_i32 s4, 0x21c
	v_add_co_u32_e64 v173, s[4:5], s4, v167
	s_movk_i32 s4, 0xcd
	v_mul_lo_u16_sdwa v112, v167, s4 dst_sel:DWORD dst_unused:UNUSED_PAD src0_sel:BYTE_0 src1_sel:DWORD
	v_lshrrev_b16_e32 v144, 11, v112
	v_mul_lo_u16_e32 v112, 10, v144
	v_sub_u16_e32 v112, v167, v112
	v_and_b32_e32 v145, 0xff, v112
	v_lshlrev_b32_e32 v112, 5, v145
	global_load_dwordx4 v[114:117], v112, s[12:13] offset:16
	global_load_dwordx4 v[124:127], v112, s[12:13]
	v_add_u16_e32 v176, 0x1c2, v167
	v_add_u16_e32 v174, 0x276, v167
	;; [unrolled: 1-line block ×3, first 2 shown]
	s_mov_b32 s17, 0xbfebb67a
	s_waitcnt vmcnt(0) lgkmcnt(5)
	v_mul_f64 v[112:113], v[110:111], v[126:127]
	v_fma_f64 v[132:133], v[108:109], v[124:125], -v[112:113]
	v_mul_f64 v[108:109], v[108:109], v[126:127]
	buffer_store_dword v124, off, s[24:27], 0 offset:364 ; 4-byte Folded Spill
	s_nop 0
	buffer_store_dword v125, off, s[24:27], 0 offset:368 ; 4-byte Folded Spill
	buffer_store_dword v126, off, s[24:27], 0 offset:372 ; 4-byte Folded Spill
	;; [unrolled: 1-line block ×3, first 2 shown]
	v_fma_f64 v[134:135], v[110:111], v[124:125], v[108:109]
	s_waitcnt lgkmcnt(3)
	v_mul_f64 v[108:109], v[106:107], v[116:117]
	v_fma_f64 v[136:137], v[104:105], v[114:115], -v[108:109]
	v_mul_f64 v[104:105], v[104:105], v[116:117]
	buffer_store_dword v114, off, s[24:27], 0 offset:348 ; 4-byte Folded Spill
	s_nop 0
	buffer_store_dword v115, off, s[24:27], 0 offset:352 ; 4-byte Folded Spill
	buffer_store_dword v116, off, s[24:27], 0 offset:356 ; 4-byte Folded Spill
	;; [unrolled: 1-line block ×3, first 2 shown]
	v_fma_f64 v[138:139], v[106:107], v[114:115], v[104:105]
	v_mul_lo_u16_sdwa v104, v193, s4 dst_sel:DWORD dst_unused:UNUSED_PAD src0_sel:BYTE_0 src1_sel:DWORD
	v_lshrrev_b16_e32 v146, 11, v104
	v_mul_lo_u16_e32 v104, 10, v146
	v_sub_u16_e32 v104, v193, v104
	v_and_b32_e32 v147, 0xff, v104
	v_lshlrev_b32_e32 v104, 5, v147
	global_load_dwordx4 v[106:109], v104, s[12:13] offset:16
	global_load_dwordx4 v[110:113], v104, s[12:13]
	s_mov_b32 s4, 0xcccd
	s_waitcnt vmcnt(0)
	v_mul_f64 v[104:105], v[98:99], v[112:113]
	v_fma_f64 v[124:125], v[96:97], v[110:111], -v[104:105]
	v_mul_f64 v[96:97], v[96:97], v[112:113]
	buffer_store_dword v110, off, s[24:27], 0 offset:396 ; 4-byte Folded Spill
	s_nop 0
	buffer_store_dword v111, off, s[24:27], 0 offset:400 ; 4-byte Folded Spill
	buffer_store_dword v112, off, s[24:27], 0 offset:404 ; 4-byte Folded Spill
	buffer_store_dword v113, off, s[24:27], 0 offset:408 ; 4-byte Folded Spill
	v_fma_f64 v[126:127], v[98:99], v[110:111], v[96:97]
	v_mul_f64 v[96:97], v[94:95], v[108:109]
	v_fma_f64 v[128:129], v[92:93], v[106:107], -v[96:97]
	v_mul_f64 v[92:93], v[92:93], v[108:109]
	buffer_store_dword v106, off, s[24:27], 0 offset:380 ; 4-byte Folded Spill
	s_nop 0
	buffer_store_dword v107, off, s[24:27], 0 offset:384 ; 4-byte Folded Spill
	buffer_store_dword v108, off, s[24:27], 0 offset:388 ; 4-byte Folded Spill
	buffer_store_dword v109, off, s[24:27], 0 offset:392 ; 4-byte Folded Spill
	v_fma_f64 v[130:131], v[94:95], v[106:107], v[92:93]
	v_mul_u32_u24_sdwa v92, v192, s4 dst_sel:DWORD dst_unused:UNUSED_PAD src0_sel:WORD_0 src1_sel:DWORD
	v_lshrrev_b32_e32 v152, 19, v92
	v_mul_lo_u16_e32 v92, 10, v152
	v_sub_u16_e32 v153, v192, v92
	v_lshlrev_b16_e32 v92, 1, v153
	v_lshlrev_b32_e32 v92, 4, v92
	global_load_dwordx4 v[94:97], v92, s[12:13] offset:16
	global_load_dwordx4 v[104:107], v92, s[12:13]
	s_waitcnt vmcnt(0)
	v_mul_f64 v[92:93], v[90:91], v[106:107]
	v_fma_f64 v[112:113], v[88:89], v[104:105], -v[92:93]
	v_mul_f64 v[88:89], v[88:89], v[106:107]
	buffer_store_dword v104, off, s[24:27], 0 offset:428 ; 4-byte Folded Spill
	s_nop 0
	buffer_store_dword v105, off, s[24:27], 0 offset:432 ; 4-byte Folded Spill
	buffer_store_dword v106, off, s[24:27], 0 offset:436 ; 4-byte Folded Spill
	buffer_store_dword v107, off, s[24:27], 0 offset:440 ; 4-byte Folded Spill
	v_fma_f64 v[114:115], v[90:91], v[104:105], v[88:89]
	v_mul_f64 v[88:89], v[86:87], v[96:97]
	v_fma_f64 v[116:117], v[84:85], v[94:95], -v[88:89]
	v_mul_f64 v[84:85], v[84:85], v[96:97]
	buffer_store_dword v94, off, s[24:27], 0 offset:412 ; 4-byte Folded Spill
	s_nop 0
	buffer_store_dword v95, off, s[24:27], 0 offset:416 ; 4-byte Folded Spill
	buffer_store_dword v96, off, s[24:27], 0 offset:420 ; 4-byte Folded Spill
	buffer_store_dword v97, off, s[24:27], 0 offset:424 ; 4-byte Folded Spill
	v_fma_f64 v[118:119], v[86:87], v[94:95], v[84:85]
	v_mul_u32_u24_sdwa v84, v122, s4 dst_sel:DWORD dst_unused:UNUSED_PAD src0_sel:WORD_0 src1_sel:DWORD
	v_lshrrev_b32_e32 v154, 19, v84
	v_mul_lo_u16_e32 v84, 10, v154
	v_sub_u16_e32 v155, v122, v84
	v_lshlrev_b16_e32 v84, 1, v155
	v_lshlrev_b32_e32 v84, 4, v84
	global_load_dwordx4 v[86:89], v84, s[12:13] offset:16
	global_load_dwordx4 v[90:93], v84, s[12:13]
	;; [unrolled: 27-line block ×3, first 2 shown]
	s_waitcnt vmcnt(0)
	v_mul_f64 v[76:77], v[74:75], v[84:85]
	v_fma_f64 v[92:93], v[72:73], v[82:83], -v[76:77]
	v_mul_f64 v[72:73], v[72:73], v[84:85]
	buffer_store_dword v82, off, s[24:27], 0 offset:492 ; 4-byte Folded Spill
	s_nop 0
	buffer_store_dword v83, off, s[24:27], 0 offset:496 ; 4-byte Folded Spill
	buffer_store_dword v84, off, s[24:27], 0 offset:500 ; 4-byte Folded Spill
	;; [unrolled: 1-line block ×3, first 2 shown]
	v_fma_f64 v[94:95], v[74:75], v[82:83], v[72:73]
	v_mul_f64 v[72:73], v[70:71], v[80:81]
	v_fma_f64 v[96:97], v[68:69], v[78:79], -v[72:73]
	v_mul_f64 v[68:69], v[68:69], v[80:81]
	buffer_store_dword v78, off, s[24:27], 0 offset:476 ; 4-byte Folded Spill
	s_nop 0
	buffer_store_dword v79, off, s[24:27], 0 offset:480 ; 4-byte Folded Spill
	buffer_store_dword v80, off, s[24:27], 0 offset:484 ; 4-byte Folded Spill
	;; [unrolled: 1-line block ×3, first 2 shown]
	v_fma_f64 v[98:99], v[70:71], v[78:79], v[68:69]
	v_mul_u32_u24_e32 v68, 0xcccd, v176
	v_lshrrev_b32_e32 v158, 19, v68
	v_mul_lo_u16_e32 v68, 10, v158
	v_sub_u16_e32 v159, v176, v68
	v_lshlrev_b16_e32 v68, 1, v159
	v_lshlrev_b32_e32 v68, 4, v68
	global_load_dwordx4 v[70:73], v68, s[12:13] offset:16
	global_load_dwordx4 v[74:77], v68, s[12:13]
	s_waitcnt vmcnt(0)
	v_mul_f64 v[68:69], v[66:67], v[76:77]
	v_fma_f64 v[84:85], v[64:65], v[74:75], -v[68:69]
	v_mul_f64 v[64:65], v[64:65], v[76:77]
	buffer_store_dword v74, off, s[24:27], 0 offset:524 ; 4-byte Folded Spill
	s_nop 0
	buffer_store_dword v75, off, s[24:27], 0 offset:528 ; 4-byte Folded Spill
	buffer_store_dword v76, off, s[24:27], 0 offset:532 ; 4-byte Folded Spill
	;; [unrolled: 1-line block ×3, first 2 shown]
	v_fma_f64 v[86:87], v[66:67], v[74:75], v[64:65]
	v_mul_f64 v[64:65], v[62:63], v[72:73]
	v_fma_f64 v[88:89], v[60:61], v[70:71], -v[64:65]
	v_mul_f64 v[60:61], v[60:61], v[72:73]
	buffer_store_dword v70, off, s[24:27], 0 offset:508 ; 4-byte Folded Spill
	s_nop 0
	buffer_store_dword v71, off, s[24:27], 0 offset:512 ; 4-byte Folded Spill
	buffer_store_dword v72, off, s[24:27], 0 offset:516 ; 4-byte Folded Spill
	;; [unrolled: 1-line block ×3, first 2 shown]
	v_fma_f64 v[90:91], v[62:63], v[70:71], v[60:61]
	v_mul_u32_u24_sdwa v60, v173, s4 dst_sel:DWORD dst_unused:UNUSED_PAD src0_sel:WORD_0 src1_sel:DWORD
	v_lshrrev_b32_e32 v160, 19, v60
	v_mul_lo_u16_e32 v60, 10, v160
	v_sub_u16_e32 v161, v173, v60
	v_lshlrev_b16_e32 v60, 1, v161
	v_lshlrev_b32_e32 v60, 4, v60
	global_load_dwordx4 v[62:65], v60, s[12:13] offset:16
	global_load_dwordx4 v[68:71], v60, s[12:13]
	s_mov_b32 s4, 0xe8584caa
	s_mov_b32 s5, 0x3febb67a
	s_mov_b32 s16, s4
	s_waitcnt vmcnt(0)
	v_mul_f64 v[60:61], v[58:59], v[70:71]
	v_fma_f64 v[66:67], v[56:57], v[68:69], -v[60:61]
	v_mul_f64 v[56:57], v[56:57], v[70:71]
	buffer_store_dword v68, off, s[24:27], 0 offset:556 ; 4-byte Folded Spill
	s_nop 0
	buffer_store_dword v69, off, s[24:27], 0 offset:560 ; 4-byte Folded Spill
	buffer_store_dword v70, off, s[24:27], 0 offset:564 ; 4-byte Folded Spill
	buffer_store_dword v71, off, s[24:27], 0 offset:568 ; 4-byte Folded Spill
	v_fma_f64 v[80:81], v[58:59], v[68:69], v[56:57]
	v_mul_f64 v[56:57], v[54:55], v[64:65]
	v_add_f64 v[58:59], v[114:115], v[118:119]
	v_fma_f64 v[78:79], v[52:53], v[62:63], -v[56:57]
	v_mul_f64 v[52:53], v[52:53], v[64:65]
	buffer_store_dword v62, off, s[24:27], 0 offset:540 ; 4-byte Folded Spill
	s_nop 0
	buffer_store_dword v63, off, s[24:27], 0 offset:544 ; 4-byte Folded Spill
	buffer_store_dword v64, off, s[24:27], 0 offset:548 ; 4-byte Folded Spill
	;; [unrolled: 1-line block ×3, first 2 shown]
	v_fma_f64 v[82:83], v[54:55], v[62:63], v[52:53]
	v_mul_u32_u24_e32 v52, 0xcccd, v174
	v_lshrrev_b32_e32 v162, 19, v52
	v_mul_lo_u16_e32 v52, 10, v162
	v_sub_u16_e32 v163, v174, v52
	v_lshlrev_b16_e32 v52, 1, v163
	v_lshlrev_b32_e32 v52, 4, v52
	global_load_dwordx4 v[54:57], v52, s[12:13] offset:16
	global_load_dwordx4 v[62:65], v52, s[12:13]
	s_waitcnt vmcnt(0) lgkmcnt(2)
	v_mul_f64 v[52:53], v[50:51], v[64:65]
	v_fma_f64 v[60:61], v[48:49], v[62:63], -v[52:53]
	v_mul_f64 v[48:49], v[48:49], v[64:65]
	buffer_store_dword v62, off, s[24:27], 0 offset:592 ; 4-byte Folded Spill
	s_nop 0
	buffer_store_dword v63, off, s[24:27], 0 offset:596 ; 4-byte Folded Spill
	buffer_store_dword v64, off, s[24:27], 0 offset:600 ; 4-byte Folded Spill
	;; [unrolled: 1-line block ×3, first 2 shown]
	v_fma_f64 v[62:63], v[50:51], v[62:63], v[48:49]
	s_waitcnt lgkmcnt(0)
	v_mul_f64 v[48:49], v[46:47], v[56:57]
	v_fma_f64 v[64:65], v[44:45], v[54:55], -v[48:49]
	v_mul_f64 v[44:45], v[44:45], v[56:57]
	buffer_store_dword v54, off, s[24:27], 0 offset:572 ; 4-byte Folded Spill
	s_nop 0
	buffer_store_dword v55, off, s[24:27], 0 offset:576 ; 4-byte Folded Spill
	buffer_store_dword v56, off, s[24:27], 0 offset:580 ; 4-byte Folded Spill
	buffer_store_dword v57, off, s[24:27], 0 offset:584 ; 4-byte Folded Spill
	v_fma_f64 v[76:77], v[46:47], v[54:55], v[44:45]
	v_mul_u32_u24_e32 v44, 0xcccd, v175
	v_lshrrev_b32_e32 v44, 19, v44
	buffer_store_dword v44, off, s[24:27], 0 offset:340 ; 4-byte Folded Spill
	v_mul_lo_u16_e32 v44, 10, v44
	v_sub_u16_e32 v44, v175, v44
	buffer_store_dword v44, off, s[24:27], 0 offset:344 ; 4-byte Folded Spill
	v_lshlrev_b16_e32 v44, 1, v44
	v_lshlrev_b32_e32 v44, 4, v44
	global_load_dwordx4 v[46:49], v44, s[12:13] offset:16
	global_load_dwordx4 v[50:53], v44, s[12:13]
	v_add_f64 v[54:55], v[112:113], v[116:117]
	s_waitcnt vmcnt(0)
	v_mul_f64 v[44:45], v[30:31], v[52:53]
	v_fma_f64 v[68:69], v[28:29], v[50:51], -v[44:45]
	v_mul_f64 v[28:29], v[28:29], v[52:53]
	buffer_store_dword v50, off, s[24:27], 0 offset:624 ; 4-byte Folded Spill
	s_nop 0
	buffer_store_dword v51, off, s[24:27], 0 offset:628 ; 4-byte Folded Spill
	buffer_store_dword v52, off, s[24:27], 0 offset:632 ; 4-byte Folded Spill
	;; [unrolled: 1-line block ×3, first 2 shown]
	v_add_f64 v[44:45], v[132:133], -v[136:137]
	v_add_f64 v[52:53], v[124:125], -v[128:129]
	v_fma_f64 v[74:75], v[30:31], v[50:51], v[28:29]
	v_mul_f64 v[28:29], v[34:35], v[48:49]
	v_add_f64 v[30:31], v[132:133], v[136:137]
	v_add_f64 v[50:51], v[126:127], v[130:131]
	v_fma_f64 v[70:71], v[32:33], v[46:47], -v[28:29]
	v_mul_f64 v[28:29], v[32:33], v[48:49]
	buffer_store_dword v46, off, s[24:27], 0 offset:608 ; 4-byte Folded Spill
	s_nop 0
	buffer_store_dword v47, off, s[24:27], 0 offset:612 ; 4-byte Folded Spill
	buffer_store_dword v48, off, s[24:27], 0 offset:616 ; 4-byte Folded Spill
	;; [unrolled: 1-line block ×3, first 2 shown]
	v_fma_f64 v[30:31], v[30:31], -0.5, v[40:41]
	v_add_f64 v[32:33], v[134:135], -v[138:139]
	s_waitcnt vmcnt(0)
	s_barrier
	v_fma_f64 v[72:73], v[34:35], v[46:47], v[28:29]
	v_add_f64 v[34:35], v[134:135], v[138:139]
	v_add_f64 v[46:47], v[124:125], v[128:129]
	;; [unrolled: 1-line block ×3, first 2 shown]
	v_fma_f64 v[40:41], v[32:33], s[4:5], v[30:31]
	v_fma_f64 v[32:33], v[32:33], s[16:17], v[30:31]
	v_add_f64 v[30:31], v[42:43], v[134:135]
	v_fma_f64 v[34:35], v[34:35], -0.5, v[42:43]
	v_add_f64 v[28:29], v[28:29], v[136:137]
	v_add_f64 v[30:31], v[30:31], v[138:139]
	v_fma_f64 v[42:43], v[44:45], s[16:17], v[34:35]
	v_fma_f64 v[34:35], v[44:45], s[4:5], v[34:35]
	v_add_f64 v[44:45], v[36:37], v[124:125]
	v_fma_f64 v[36:37], v[46:47], -0.5, v[36:37]
	v_add_f64 v[46:47], v[126:127], -v[130:131]
	v_add_f64 v[44:45], v[44:45], v[128:129]
	v_fma_f64 v[48:49], v[46:47], s[4:5], v[36:37]
	v_fma_f64 v[36:37], v[46:47], s[16:17], v[36:37]
	v_add_f64 v[46:47], v[38:39], v[126:127]
	v_fma_f64 v[38:39], v[50:51], -0.5, v[38:39]
	v_add_f64 v[46:47], v[46:47], v[130:131]
	v_fma_f64 v[50:51], v[52:53], s[16:17], v[38:39]
	v_fma_f64 v[38:39], v[52:53], s[4:5], v[38:39]
	v_add_f64 v[52:53], v[24:25], v[112:113]
	v_fma_f64 v[24:25], v[54:55], -0.5, v[24:25]
	v_add_f64 v[54:55], v[114:115], -v[118:119]
	v_add_f64 v[112:113], v[112:113], -v[116:117]
	v_add_f64 v[52:53], v[52:53], v[116:117]
	v_add_f64 v[116:117], v[106:107], -v[110:111]
	v_fma_f64 v[56:57], v[54:55], s[4:5], v[24:25]
	v_fma_f64 v[24:25], v[54:55], s[16:17], v[24:25]
	v_add_f64 v[54:55], v[26:27], v[114:115]
	v_add_f64 v[114:115], v[104:105], v[108:109]
	v_fma_f64 v[26:27], v[58:59], -0.5, v[26:27]
	v_add_f64 v[54:55], v[54:55], v[118:119]
	v_fma_f64 v[114:115], v[114:115], -0.5, v[20:21]
	v_fma_f64 v[58:59], v[112:113], s[16:17], v[26:27]
	v_fma_f64 v[26:27], v[112:113], s[4:5], v[26:27]
	v_add_f64 v[112:113], v[20:21], v[104:105]
	v_add_f64 v[104:105], v[104:105], -v[108:109]
	v_fma_f64 v[20:21], v[116:117], s[4:5], v[114:115]
	v_fma_f64 v[116:117], v[116:117], s[16:17], v[114:115]
	v_add_f64 v[114:115], v[22:23], v[106:107]
	v_add_f64 v[106:107], v[106:107], v[110:111]
	;; [unrolled: 1-line block ×3, first 2 shown]
	v_add_f64 v[108:109], v[94:95], -v[98:99]
	v_add_f64 v[114:115], v[114:115], v[110:111]
	v_fma_f64 v[106:107], v[106:107], -0.5, v[22:23]
	v_fma_f64 v[22:23], v[104:105], s[16:17], v[106:107]
	v_fma_f64 v[118:119], v[104:105], s[4:5], v[106:107]
	v_add_f64 v[106:107], v[92:93], v[96:97]
	v_add_f64 v[104:105], v[16:17], v[92:93]
	v_add_f64 v[92:93], v[92:93], -v[96:97]
	v_fma_f64 v[106:107], v[106:107], -0.5, v[16:17]
	v_add_f64 v[104:105], v[104:105], v[96:97]
	v_add_f64 v[96:97], v[86:87], -v[90:91]
	v_fma_f64 v[16:17], v[108:109], s[4:5], v[106:107]
	v_fma_f64 v[108:109], v[108:109], s[16:17], v[106:107]
	v_add_f64 v[106:107], v[18:19], v[94:95]
	v_add_f64 v[94:95], v[94:95], v[98:99]
	;; [unrolled: 1-line block ×3, first 2 shown]
	v_fma_f64 v[94:95], v[94:95], -0.5, v[18:19]
	v_fma_f64 v[18:19], v[92:93], s[16:17], v[94:95]
	v_fma_f64 v[110:111], v[92:93], s[4:5], v[94:95]
	v_add_f64 v[94:95], v[84:85], v[88:89]
	v_add_f64 v[92:93], v[12:13], v[84:85]
	v_add_f64 v[84:85], v[84:85], -v[88:89]
	v_fma_f64 v[94:95], v[94:95], -0.5, v[12:13]
	v_add_f64 v[92:93], v[92:93], v[88:89]
	v_add_f64 v[88:89], v[80:81], -v[82:83]
	v_fma_f64 v[12:13], v[96:97], s[4:5], v[94:95]
	v_fma_f64 v[96:97], v[96:97], s[16:17], v[94:95]
	v_add_f64 v[94:95], v[14:15], v[86:87]
	v_add_f64 v[86:87], v[86:87], v[90:91]
	;; [unrolled: 1-line block ×3, first 2 shown]
	v_fma_f64 v[86:87], v[86:87], -0.5, v[14:15]
	v_fma_f64 v[14:15], v[84:85], s[16:17], v[86:87]
	v_fma_f64 v[98:99], v[84:85], s[4:5], v[86:87]
	v_add_f64 v[86:87], v[66:67], v[78:79]
	v_add_f64 v[84:85], v[8:9], v[66:67]
	v_add_f64 v[66:67], v[66:67], -v[78:79]
	v_fma_f64 v[86:87], v[86:87], -0.5, v[8:9]
	v_add_f64 v[84:85], v[84:85], v[78:79]
	v_fma_f64 v[8:9], v[88:89], s[4:5], v[86:87]
	v_fma_f64 v[88:89], v[88:89], s[16:17], v[86:87]
	v_add_f64 v[86:87], v[10:11], v[80:81]
	v_add_f64 v[80:81], v[80:81], v[82:83]
	;; [unrolled: 1-line block ×3, first 2 shown]
	v_fma_f64 v[80:81], v[80:81], -0.5, v[10:11]
	v_fma_f64 v[10:11], v[66:67], s[16:17], v[80:81]
	v_fma_f64 v[90:91], v[66:67], s[4:5], v[80:81]
	v_add_f64 v[66:67], v[4:5], v[60:61]
	v_add_f64 v[80:81], v[62:63], -v[76:77]
	v_add_f64 v[78:79], v[66:67], v[64:65]
	v_add_f64 v[66:67], v[60:61], v[64:65]
	v_add_f64 v[60:61], v[60:61], -v[64:65]
	v_add_f64 v[64:65], v[74:75], -v[72:73]
	v_fma_f64 v[66:67], v[66:67], -0.5, v[4:5]
	v_fma_f64 v[4:5], v[80:81], s[4:5], v[66:67]
	v_fma_f64 v[124:125], v[80:81], s[16:17], v[66:67]
	v_add_f64 v[66:67], v[6:7], v[62:63]
	v_add_f64 v[62:63], v[62:63], v[76:77]
	;; [unrolled: 1-line block ×3, first 2 shown]
	v_fma_f64 v[62:63], v[62:63], -0.5, v[6:7]
	v_add_f64 v[76:77], v[68:69], -v[70:71]
	v_fma_f64 v[6:7], v[60:61], s[16:17], v[62:63]
	v_fma_f64 v[126:127], v[60:61], s[4:5], v[62:63]
	v_add_f64 v[60:61], v[68:69], v[70:71]
	v_fma_f64 v[62:63], v[60:61], -0.5, v[0:1]
	v_fma_f64 v[60:61], v[64:65], s[4:5], v[62:63]
	v_fma_f64 v[64:65], v[64:65], s[16:17], v[62:63]
	v_add_f64 v[62:63], v[74:75], v[72:73]
	v_fma_f64 v[66:67], v[62:63], -0.5, v[2:3]
	v_fma_f64 v[62:63], v[76:77], s[16:17], v[66:67]
	v_fma_f64 v[66:67], v[76:77], s[4:5], v[66:67]
	v_mul_u32_u24_e32 v76, 30, v144
	v_add_lshl_u32 v76, v76, v145, 4
	ds_write_b128 v76, v[28:31]
	ds_write_b128 v76, v[40:43] offset:160
	v_mul_u32_u24_e32 v28, 30, v146
	v_add_lshl_u32 v28, v28, v147, 4
	buffer_store_dword v76, off, s[24:27], 0 offset:640 ; 4-byte Folded Spill
	ds_write_b128 v76, v[32:35] offset:320
	ds_write_b128 v28, v[44:47]
	ds_write_b128 v28, v[48:51] offset:160
	buffer_store_dword v28, off, s[24:27], 0 offset:644 ; 4-byte Folded Spill
	ds_write_b128 v28, v[36:39] offset:320
	v_mad_legacy_u16 v28, v152, 30, v153
	v_lshlrev_b32_e32 v28, 4, v28
	ds_write_b128 v28, v[52:55]
	ds_write_b128 v28, v[56:59] offset:160
	ds_write_b128 v28, v[24:27] offset:320
	v_mad_legacy_u16 v24, v154, 30, v155
	v_lshlrev_b32_e32 v24, 4, v24
	buffer_store_dword v28, off, s[24:27], 0 offset:648 ; 4-byte Folded Spill
	ds_write_b128 v24, v[112:115]
	ds_write_b128 v24, v[20:23] offset:160
	v_mad_legacy_u16 v20, v156, 30, v157
	v_lshlrev_b32_e32 v20, 4, v20
	buffer_store_dword v24, off, s[24:27], 0 offset:652 ; 4-byte Folded Spill
	ds_write_b128 v24, v[116:119] offset:320
	ds_write_b128 v20, v[104:107]
	ds_write_b128 v20, v[16:19] offset:160
	v_mad_legacy_u16 v16, v158, 30, v159
	v_lshlrev_b32_e32 v16, 4, v16
	buffer_store_dword v20, off, s[24:27], 0 offset:656 ; 4-byte Folded Spill
	ds_write_b128 v20, v[108:111] offset:320
	;; [unrolled: 6-line block ×4, first 2 shown]
	ds_write_b128 v8, v[78:81]
	ds_write_b128 v8, v[4:7] offset:160
	buffer_store_dword v8, off, s[24:27], 0 offset:668 ; 4-byte Folded Spill
	ds_write_b128 v8, v[124:127] offset:320
	s_and_saveexec_b64 s[4:5], s[0:1]
	s_cbranch_execz .LBB0_11
; %bb.10:
	buffer_load_dword v4, off, s[24:27], 0 offset:340 ; 4-byte Folded Reload
	buffer_load_dword v5, off, s[24:27], 0 offset:344 ; 4-byte Folded Reload
	v_add_f64 v[2:3], v[2:3], v[74:75]
	v_add_f64 v[0:1], v[0:1], v[68:69]
	;; [unrolled: 1-line block ×4, first 2 shown]
	s_waitcnt vmcnt(0)
	v_mad_legacy_u16 v4, v4, 30, v5
	v_lshlrev_b32_e32 v4, 4, v4
	ds_write_b128 v4, v[60:63] offset:160
	ds_write_b128 v4, v[0:3]
	ds_write_b128 v4, v[64:67] offset:320
.LBB0_11:
	s_or_b64 exec, exec, s[4:5]
	s_movk_i32 s4, 0x89
	v_mul_lo_u16_sdwa v112, v167, s4 dst_sel:DWORD dst_unused:UNUSED_PAD src0_sel:BYTE_0 src1_sel:DWORD
	v_lshrrev_b16_e32 v166, 12, v112
	v_mul_lo_u16_e32 v112, 30, v166
	v_sub_u16_e32 v112, v167, v112
	s_waitcnt vmcnt(0) lgkmcnt(0)
	s_barrier
	ds_read_b128 v[28:31], v164
	ds_read_b128 v[76:79], v164 offset:7200
	ds_read_b128 v[80:83], v164 offset:14400
	;; [unrolled: 1-line block ×24, first 2 shown]
	buffer_store_dword v167, off, s[24:27], 0 offset:8 ; 4-byte Folded Spill
	v_and_b32_e32 v167, 0xff, v112
	v_lshlrev_b32_e32 v112, 6, v167
	global_load_dwordx4 v[114:117], v112, s[12:13] offset:368
	global_load_dwordx4 v[124:127], v112, s[12:13] offset:352
	;; [unrolled: 1-line block ×4, first 2 shown]
	s_mov_b32 s14, 0x8889
	s_mov_b32 s18, 0x134454ff
	;; [unrolled: 1-line block ×9, first 2 shown]
	s_waitcnt vmcnt(0) lgkmcnt(14)
	v_mul_f64 v[112:113], v[78:79], v[134:135]
	v_fma_f64 v[156:157], v[76:77], v[132:133], -v[112:113]
	v_mul_f64 v[76:77], v[76:77], v[134:135]
	buffer_store_dword v132, off, s[24:27], 0 offset:720 ; 4-byte Folded Spill
	s_nop 0
	buffer_store_dword v133, off, s[24:27], 0 offset:724 ; 4-byte Folded Spill
	buffer_store_dword v134, off, s[24:27], 0 offset:728 ; 4-byte Folded Spill
	buffer_store_dword v135, off, s[24:27], 0 offset:732 ; 4-byte Folded Spill
	v_fma_f64 v[144:145], v[78:79], v[132:133], v[76:77]
	v_mul_f64 v[76:77], v[82:83], v[130:131]
	v_fma_f64 v[158:159], v[80:81], v[128:129], -v[76:77]
	v_mul_f64 v[76:77], v[80:81], v[130:131]
	buffer_store_dword v128, off, s[24:27], 0 offset:704 ; 4-byte Folded Spill
	s_nop 0
	buffer_store_dword v129, off, s[24:27], 0 offset:708 ; 4-byte Folded Spill
	buffer_store_dword v130, off, s[24:27], 0 offset:712 ; 4-byte Folded Spill
	buffer_store_dword v131, off, s[24:27], 0 offset:716 ; 4-byte Folded Spill
	v_fma_f64 v[146:147], v[82:83], v[128:129], v[76:77]
	;; [unrolled: 9-line block ×4, first 2 shown]
	v_mul_lo_u16_sdwa v76, v193, s4 dst_sel:DWORD dst_unused:UNUSED_PAD src0_sel:BYTE_0 src1_sel:DWORD
	v_lshrrev_b16_e32 v168, 12, v76
	v_mul_lo_u16_e32 v76, 30, v168
	v_sub_u16_e32 v76, v193, v76
	v_and_b32_e32 v169, 0xff, v76
	v_lshlrev_b32_e32 v76, 6, v169
	global_load_dwordx4 v[80:83], v76, s[12:13] offset:368
	global_load_dwordx4 v[84:87], v76, s[12:13] offset:352
	;; [unrolled: 1-line block ×4, first 2 shown]
	s_waitcnt vmcnt(1)
	v_mul_f64 v[78:79], v[98:99], v[90:91]
	s_waitcnt vmcnt(0)
	v_mul_f64 v[76:77], v[94:95], v[114:115]
	v_fma_f64 v[134:135], v[96:97], v[88:89], -v[78:79]
	v_fma_f64 v[132:133], v[92:93], v[112:113], -v[76:77]
	v_mul_f64 v[76:77], v[92:93], v[114:115]
	buffer_store_dword v112, off, s[24:27], 0 offset:784 ; 4-byte Folded Spill
	s_nop 0
	buffer_store_dword v113, off, s[24:27], 0 offset:788 ; 4-byte Folded Spill
	buffer_store_dword v114, off, s[24:27], 0 offset:792 ; 4-byte Folded Spill
	;; [unrolled: 1-line block ×3, first 2 shown]
	v_mul_f64 v[78:79], v[96:97], v[90:91]
	buffer_store_dword v88, off, s[24:27], 0 offset:768 ; 4-byte Folded Spill
	s_nop 0
	buffer_store_dword v89, off, s[24:27], 0 offset:772 ; 4-byte Folded Spill
	buffer_store_dword v90, off, s[24:27], 0 offset:776 ; 4-byte Folded Spill
	;; [unrolled: 1-line block ×3, first 2 shown]
	v_fma_f64 v[76:77], v[94:95], v[112:113], v[76:77]
	v_fma_f64 v[126:127], v[98:99], v[88:89], v[78:79]
	v_mul_f64 v[78:79], v[106:107], v[86:87]
	v_mov_b32_e32 v98, s13
	v_fma_f64 v[136:137], v[104:105], v[84:85], -v[78:79]
	v_mul_f64 v[78:79], v[104:105], v[86:87]
	buffer_store_dword v84, off, s[24:27], 0 offset:752 ; 4-byte Folded Spill
	s_nop 0
	buffer_store_dword v85, off, s[24:27], 0 offset:756 ; 4-byte Folded Spill
	buffer_store_dword v86, off, s[24:27], 0 offset:760 ; 4-byte Folded Spill
	;; [unrolled: 1-line block ×3, first 2 shown]
	v_fma_f64 v[128:129], v[106:107], v[84:85], v[78:79]
	v_mul_f64 v[78:79], v[110:111], v[82:83]
	v_fma_f64 v[138:139], v[108:109], v[80:81], -v[78:79]
	v_mul_f64 v[78:79], v[108:109], v[82:83]
	buffer_store_dword v80, off, s[24:27], 0 offset:736 ; 4-byte Folded Spill
	s_nop 0
	buffer_store_dword v81, off, s[24:27], 0 offset:740 ; 4-byte Folded Spill
	buffer_store_dword v82, off, s[24:27], 0 offset:744 ; 4-byte Folded Spill
	;; [unrolled: 1-line block ×3, first 2 shown]
	v_fma_f64 v[130:131], v[110:111], v[80:81], v[78:79]
	v_mul_u32_u24_sdwa v78, v192, s14 dst_sel:DWORD dst_unused:UNUSED_PAD src0_sel:WORD_0 src1_sel:DWORD
	v_lshrrev_b32_e32 v170, 20, v78
	v_mul_lo_u16_e32 v78, 30, v170
	v_sub_u16_e32 v171, v192, v78
	v_lshlrev_b16_e32 v78, 6, v171
	v_add_co_u32_e64 v78, s[4:5], s12, v78
	v_addc_co_u32_e64 v79, s[4:5], 0, v98, s[4:5]
	global_load_dwordx4 v[84:87], v[78:79], off offset:368
	global_load_dwordx4 v[94:97], v[78:79], off offset:352
	;; [unrolled: 1-line block ×4, first 2 shown]
	s_waitcnt vmcnt(0) lgkmcnt(13)
	v_mul_f64 v[78:79], v[74:75], v[92:93]
	v_fma_f64 v[88:89], v[72:73], v[90:91], -v[78:79]
	v_mul_f64 v[72:73], v[72:73], v[92:93]
	buffer_store_dword v90, off, s[24:27], 0 offset:848 ; 4-byte Folded Spill
	s_nop 0
	buffer_store_dword v91, off, s[24:27], 0 offset:852 ; 4-byte Folded Spill
	buffer_store_dword v92, off, s[24:27], 0 offset:856 ; 4-byte Folded Spill
	buffer_store_dword v93, off, s[24:27], 0 offset:860 ; 4-byte Folded Spill
	v_fma_f64 v[78:79], v[74:75], v[90:91], v[72:73]
	s_waitcnt lgkmcnt(12)
	v_mul_f64 v[72:73], v[70:71], v[82:83]
	v_fma_f64 v[74:75], v[68:69], v[80:81], -v[72:73]
	v_mul_f64 v[68:69], v[68:69], v[82:83]
	buffer_store_dword v80, off, s[24:27], 0 offset:832 ; 4-byte Folded Spill
	s_nop 0
	buffer_store_dword v81, off, s[24:27], 0 offset:836 ; 4-byte Folded Spill
	buffer_store_dword v82, off, s[24:27], 0 offset:840 ; 4-byte Folded Spill
	buffer_store_dword v83, off, s[24:27], 0 offset:844 ; 4-byte Folded Spill
	v_fma_f64 v[80:81], v[70:71], v[80:81], v[68:69]
	s_waitcnt lgkmcnt(11)
	;; [unrolled: 10-line block ×3, first 2 shown]
	v_mul_f64 v[56:57], v[54:55], v[86:87]
	v_fma_f64 v[58:59], v[52:53], v[84:85], -v[56:57]
	v_mul_f64 v[52:53], v[52:53], v[86:87]
	buffer_store_dword v84, off, s[24:27], 0 offset:800 ; 4-byte Folded Spill
	s_nop 0
	buffer_store_dword v85, off, s[24:27], 0 offset:804 ; 4-byte Folded Spill
	buffer_store_dword v86, off, s[24:27], 0 offset:808 ; 4-byte Folded Spill
	;; [unrolled: 1-line block ×3, first 2 shown]
	v_fma_f64 v[84:85], v[54:55], v[84:85], v[52:53]
	v_mul_u32_u24_sdwa v52, v122, s14 dst_sel:DWORD dst_unused:UNUSED_PAD src0_sel:WORD_0 src1_sel:DWORD
	v_lshrrev_b32_e32 v177, 20, v52
	v_mul_lo_u16_e32 v52, 30, v177
	v_sub_u16_e32 v178, v122, v52
	v_lshlrev_b16_e32 v52, 6, v178
	v_add_co_u32_e64 v52, s[4:5], s12, v52
	v_addc_co_u32_e64 v53, s[4:5], 0, v98, s[4:5]
	global_load_dwordx4 v[54:57], v[52:53], off offset:368
	global_load_dwordx4 v[94:97], v[52:53], off offset:352
	;; [unrolled: 1-line block ×4, first 2 shown]
	s_waitcnt vmcnt(0) lgkmcnt(8)
	v_mul_f64 v[52:53], v[50:51], v[106:107]
	v_fma_f64 v[86:87], v[48:49], v[104:105], -v[52:53]
	v_mul_f64 v[48:49], v[48:49], v[106:107]
	buffer_store_dword v104, off, s[24:27], 0 offset:912 ; 4-byte Folded Spill
	s_nop 0
	buffer_store_dword v105, off, s[24:27], 0 offset:916 ; 4-byte Folded Spill
	buffer_store_dword v106, off, s[24:27], 0 offset:920 ; 4-byte Folded Spill
	buffer_store_dword v107, off, s[24:27], 0 offset:924 ; 4-byte Folded Spill
	v_fma_f64 v[68:69], v[50:51], v[104:105], v[48:49]
	s_waitcnt lgkmcnt(7)
	v_mul_f64 v[48:49], v[46:47], v[72:73]
	v_fma_f64 v[90:91], v[44:45], v[70:71], -v[48:49]
	v_mul_f64 v[44:45], v[44:45], v[72:73]
	buffer_store_dword v70, off, s[24:27], 0 offset:896 ; 4-byte Folded Spill
	s_nop 0
	buffer_store_dword v71, off, s[24:27], 0 offset:900 ; 4-byte Folded Spill
	buffer_store_dword v72, off, s[24:27], 0 offset:904 ; 4-byte Folded Spill
	;; [unrolled: 1-line block ×3, first 2 shown]
	v_add_f64 v[72:73], v[128:129], -v[130:131]
	v_fma_f64 v[70:71], v[46:47], v[70:71], v[44:45]
	s_waitcnt lgkmcnt(6)
	v_mul_f64 v[44:45], v[42:43], v[96:97]
	v_fma_f64 v[110:111], v[40:41], v[94:95], -v[44:45]
	v_mul_f64 v[40:41], v[40:41], v[96:97]
	buffer_store_dword v94, off, s[24:27], 0 offset:880 ; 4-byte Folded Spill
	s_nop 0
	buffer_store_dword v95, off, s[24:27], 0 offset:884 ; 4-byte Folded Spill
	buffer_store_dword v96, off, s[24:27], 0 offset:888 ; 4-byte Folded Spill
	;; [unrolled: 1-line block ×3, first 2 shown]
	v_fma_f64 v[94:95], v[42:43], v[94:95], v[40:41]
	s_waitcnt lgkmcnt(5)
	v_mul_f64 v[40:41], v[38:39], v[56:57]
	v_fma_f64 v[112:113], v[36:37], v[54:55], -v[40:41]
	v_mul_f64 v[36:37], v[36:37], v[56:57]
	buffer_store_dword v54, off, s[24:27], 0 offset:864 ; 4-byte Folded Spill
	s_nop 0
	buffer_store_dword v55, off, s[24:27], 0 offset:868 ; 4-byte Folded Spill
	buffer_store_dword v56, off, s[24:27], 0 offset:872 ; 4-byte Folded Spill
	;; [unrolled: 1-line block ×3, first 2 shown]
	v_add_f64 v[56:57], v[130:131], -v[128:129]
	v_fma_f64 v[96:97], v[38:39], v[54:55], v[36:37]
	v_mul_u32_u24_sdwa v36, v120, s14 dst_sel:DWORD dst_unused:UNUSED_PAD src0_sel:WORD_0 src1_sel:DWORD
	v_lshrrev_b32_e32 v179, 20, v36
	v_mul_lo_u16_e32 v36, 30, v179
	v_sub_u16_e32 v180, v120, v36
	v_lshlrev_b16_e32 v36, 6, v180
	v_add_co_u32_e64 v36, s[4:5], s12, v36
	v_addc_co_u32_e64 v37, s[4:5], 0, v98, s[4:5]
	global_load_dwordx4 v[38:41], v[36:37], off offset:368
	global_load_dwordx4 v[42:45], v[36:37], off offset:352
	;; [unrolled: 1-line block ×4, first 2 shown]
	s_mov_b32 s4, 0x372fe950
	s_mov_b32 s5, 0x3fd3c6ef
	v_add_f64 v[54:55], v[134:135], -v[136:137]
	s_waitcnt vmcnt(0) lgkmcnt(3)
	v_mul_f64 v[36:37], v[34:35], v[52:53]
	v_fma_f64 v[114:115], v[32:33], v[50:51], -v[36:37]
	v_mul_f64 v[32:33], v[32:33], v[52:53]
	buffer_store_dword v50, off, s[24:27], 0 offset:976 ; 4-byte Folded Spill
	s_nop 0
	buffer_store_dword v51, off, s[24:27], 0 offset:980 ; 4-byte Folded Spill
	buffer_store_dword v52, off, s[24:27], 0 offset:984 ; 4-byte Folded Spill
	;; [unrolled: 1-line block ×3, first 2 shown]
	v_add_f64 v[36:37], v[156:157], -v[162:163]
	v_add_f64 v[52:53], v[132:133], -v[138:139]
	v_fma_f64 v[98:99], v[34:35], v[50:51], v[32:33]
	s_waitcnt lgkmcnt(2)
	v_mul_f64 v[32:33], v[26:27], v[48:49]
	v_add_f64 v[34:35], v[160:161], -v[162:163]
	v_add_f64 v[50:51], v[136:137], -v[138:139]
	v_fma_f64 v[116:117], v[24:25], v[46:47], -v[32:33]
	v_mul_f64 v[24:25], v[24:25], v[48:49]
	buffer_store_dword v46, off, s[24:27], 0 offset:960 ; 4-byte Folded Spill
	s_nop 0
	buffer_store_dword v47, off, s[24:27], 0 offset:964 ; 4-byte Folded Spill
	buffer_store_dword v48, off, s[24:27], 0 offset:968 ; 4-byte Folded Spill
	;; [unrolled: 1-line block ×3, first 2 shown]
	v_add_f64 v[32:33], v[162:163], -v[160:161]
	v_add_f64 v[48:49], v[138:139], -v[136:137]
	v_fma_f64 v[104:105], v[26:27], v[46:47], v[24:25]
	s_waitcnt lgkmcnt(1)
	v_mul_f64 v[24:25], v[22:23], v[44:45]
	v_add_f64 v[26:27], v[146:147], -v[152:153]
	v_add_f64 v[46:47], v[126:127], -v[128:129]
	v_fma_f64 v[118:119], v[20:21], v[42:43], -v[24:25]
	v_mul_f64 v[20:21], v[20:21], v[44:45]
	buffer_store_dword v42, off, s[24:27], 0 offset:944 ; 4-byte Folded Spill
	s_nop 0
	buffer_store_dword v43, off, s[24:27], 0 offset:948 ; 4-byte Folded Spill
	buffer_store_dword v44, off, s[24:27], 0 offset:952 ; 4-byte Folded Spill
	;; [unrolled: 1-line block ×3, first 2 shown]
	v_add_f64 v[24:25], v[156:157], -v[158:159]
	v_add_f64 v[44:45], v[132:133], -v[134:135]
	v_add_f64 v[32:33], v[24:25], v[32:33]
	v_add_f64 v[48:49], v[44:45], v[48:49]
	v_fma_f64 v[106:107], v[22:23], v[42:43], v[20:21]
	s_waitcnt lgkmcnt(0)
	v_mul_f64 v[20:21], v[18:19], v[40:41]
	v_add_f64 v[22:23], v[144:145], -v[154:155]
	v_add_f64 v[42:43], v[152:153], -v[154:155]
	v_fma_f64 v[124:125], v[16:17], v[38:39], -v[20:21]
	v_mul_f64 v[16:17], v[16:17], v[40:41]
	buffer_store_dword v38, off, s[24:27], 0 offset:928 ; 4-byte Folded Spill
	s_nop 0
	buffer_store_dword v39, off, s[24:27], 0 offset:932 ; 4-byte Folded Spill
	buffer_store_dword v40, off, s[24:27], 0 offset:936 ; 4-byte Folded Spill
	;; [unrolled: 1-line block ×3, first 2 shown]
	v_add_f64 v[40:41], v[154:155], -v[152:153]
	s_waitcnt vmcnt(0)
	s_barrier
	v_fma_f64 v[108:109], v[18:19], v[38:39], v[16:17]
	v_add_f64 v[18:19], v[158:159], v[160:161]
	v_add_f64 v[16:17], v[28:29], v[156:157]
	v_add_f64 v[38:39], v[158:159], -v[160:161]
	v_fma_f64 v[18:19], v[18:19], -0.5, v[28:29]
	v_add_f64 v[16:17], v[16:17], v[158:159]
	v_fma_f64 v[20:21], v[22:23], s[18:19], v[18:19]
	v_fma_f64 v[18:19], v[22:23], s[20:21], v[18:19]
	v_add_f64 v[16:17], v[16:17], v[160:161]
	v_fma_f64 v[20:21], v[26:27], s[16:17], v[20:21]
	v_fma_f64 v[18:19], v[26:27], s[22:23], v[18:19]
	;; [unrolled: 3-line block ×3, first 2 shown]
	v_add_f64 v[18:19], v[156:157], v[162:163]
	v_add_f64 v[32:33], v[158:159], -v[156:157]
	v_fma_f64 v[18:19], v[18:19], -0.5, v[28:29]
	v_add_f64 v[34:35], v[32:33], v[34:35]
	v_fma_f64 v[28:29], v[26:27], s[20:21], v[18:19]
	v_fma_f64 v[18:19], v[26:27], s[18:19], v[18:19]
	;; [unrolled: 1-line block ×4, first 2 shown]
	v_add_f64 v[22:23], v[146:147], v[152:153]
	v_fma_f64 v[32:33], v[34:35], s[4:5], v[28:29]
	v_fma_f64 v[28:29], v[34:35], s[4:5], v[18:19]
	v_fma_f64 v[22:23], v[22:23], -0.5, v[30:31]
	v_add_f64 v[34:35], v[144:145], -v[146:147]
	v_add_f64 v[18:19], v[30:31], v[144:145]
	v_fma_f64 v[26:27], v[36:37], s[20:21], v[22:23]
	v_fma_f64 v[22:23], v[36:37], s[18:19], v[22:23]
	v_add_f64 v[34:35], v[34:35], v[40:41]
	v_add_f64 v[40:41], v[146:147], -v[144:145]
	v_add_f64 v[18:19], v[18:19], v[146:147]
	v_fma_f64 v[26:27], v[38:39], s[22:23], v[26:27]
	v_fma_f64 v[22:23], v[38:39], s[16:17], v[22:23]
	v_add_f64 v[40:41], v[40:41], v[42:43]
	;; [unrolled: 5-line block ×3, first 2 shown]
	v_add_f64 v[18:19], v[18:19], v[154:155]
	v_fma_f64 v[30:31], v[34:35], -0.5, v[30:31]
	v_fma_f64 v[34:35], v[38:39], s[18:19], v[30:31]
	v_fma_f64 v[30:31], v[38:39], s[20:21], v[30:31]
	v_add_f64 v[38:39], v[134:135], v[136:137]
	v_fma_f64 v[34:35], v[36:37], s[22:23], v[34:35]
	v_fma_f64 v[30:31], v[36:37], s[16:17], v[30:31]
	v_fma_f64 v[38:39], v[38:39], -0.5, v[12:13]
	v_add_f64 v[36:37], v[12:13], v[132:133]
	v_fma_f64 v[34:35], v[40:41], s[4:5], v[34:35]
	v_fma_f64 v[30:31], v[40:41], s[4:5], v[30:31]
	;; [unrolled: 1-line block ×4, first 2 shown]
	v_add_f64 v[36:37], v[36:37], v[134:135]
	v_fma_f64 v[40:41], v[46:47], s[16:17], v[40:41]
	v_fma_f64 v[38:39], v[46:47], s[22:23], v[38:39]
	v_add_f64 v[36:37], v[36:37], v[136:137]
	v_fma_f64 v[44:45], v[48:49], s[4:5], v[40:41]
	v_fma_f64 v[40:41], v[48:49], s[4:5], v[38:39]
	v_add_f64 v[38:39], v[132:133], v[138:139]
	v_add_f64 v[48:49], v[134:135], -v[132:133]
	v_add_f64 v[36:37], v[36:37], v[138:139]
	v_fma_f64 v[12:13], v[38:39], -0.5, v[12:13]
	v_add_f64 v[50:51], v[48:49], v[50:51]
	v_fma_f64 v[38:39], v[46:47], s[20:21], v[12:13]
	v_fma_f64 v[12:13], v[46:47], s[18:19], v[12:13]
	;; [unrolled: 1-line block ×4, first 2 shown]
	v_add_f64 v[42:43], v[126:127], v[128:129]
	v_fma_f64 v[48:49], v[50:51], s[4:5], v[38:39]
	v_fma_f64 v[12:13], v[50:51], s[4:5], v[12:13]
	v_fma_f64 v[42:43], v[42:43], -0.5, v[14:15]
	v_add_f64 v[50:51], v[76:77], -v[126:127]
	v_add_f64 v[38:39], v[14:15], v[76:77]
	v_fma_f64 v[46:47], v[52:53], s[20:21], v[42:43]
	v_fma_f64 v[42:43], v[52:53], s[18:19], v[42:43]
	v_add_f64 v[50:51], v[50:51], v[56:57]
	v_add_f64 v[56:57], v[126:127], -v[76:77]
	v_add_f64 v[38:39], v[38:39], v[126:127]
	v_add_f64 v[126:127], v[78:79], -v[84:85]
	v_fma_f64 v[46:47], v[54:55], s[22:23], v[46:47]
	v_fma_f64 v[42:43], v[54:55], s[16:17], v[42:43]
	v_add_f64 v[56:57], v[56:57], v[72:73]
	v_add_f64 v[38:39], v[38:39], v[128:129]
	v_add_f64 v[128:129], v[80:81], -v[82:83]
	v_add_f64 v[72:73], v[88:89], -v[74:75]
	v_fma_f64 v[46:47], v[50:51], s[4:5], v[46:47]
	v_fma_f64 v[42:43], v[50:51], s[4:5], v[42:43]
	v_add_f64 v[50:51], v[76:77], v[130:131]
	v_add_f64 v[76:77], v[58:59], -v[92:93]
	v_add_f64 v[38:39], v[38:39], v[130:131]
	v_add_f64 v[130:131], v[92:93], -v[58:59]
	v_fma_f64 v[14:15], v[50:51], -0.5, v[14:15]
	v_add_f64 v[76:77], v[72:73], v[76:77]
	v_fma_f64 v[50:51], v[54:55], s[18:19], v[14:15]
	v_fma_f64 v[14:15], v[54:55], s[20:21], v[14:15]
	v_add_f64 v[54:55], v[74:75], v[92:93]
	v_fma_f64 v[50:51], v[52:53], s[22:23], v[50:51]
	v_fma_f64 v[14:15], v[52:53], s[16:17], v[14:15]
	v_fma_f64 v[54:55], v[54:55], -0.5, v[8:9]
	v_add_f64 v[52:53], v[8:9], v[88:89]
	v_fma_f64 v[50:51], v[56:57], s[4:5], v[50:51]
	v_fma_f64 v[14:15], v[56:57], s[4:5], v[14:15]
	;; [unrolled: 1-line block ×4, first 2 shown]
	v_add_f64 v[52:53], v[52:53], v[74:75]
	v_fma_f64 v[56:57], v[128:129], s[16:17], v[56:57]
	v_fma_f64 v[54:55], v[128:129], s[22:23], v[54:55]
	v_add_f64 v[52:53], v[52:53], v[92:93]
	v_add_f64 v[92:93], v[74:75], -v[92:93]
	v_fma_f64 v[72:73], v[76:77], s[4:5], v[56:57]
	v_fma_f64 v[56:57], v[76:77], s[4:5], v[54:55]
	v_add_f64 v[54:55], v[88:89], v[58:59]
	v_add_f64 v[76:77], v[74:75], -v[88:89]
	v_add_f64 v[88:89], v[88:89], -v[58:59]
	v_add_f64 v[52:53], v[52:53], v[58:59]
	v_add_f64 v[74:75], v[78:79], -v[80:81]
	v_fma_f64 v[8:9], v[54:55], -0.5, v[8:9]
	v_add_f64 v[130:131], v[76:77], v[130:131]
	v_fma_f64 v[54:55], v[128:129], s[20:21], v[8:9]
	v_fma_f64 v[8:9], v[128:129], s[18:19], v[8:9]
	v_add_f64 v[128:129], v[84:85], -v[82:83]
	v_fma_f64 v[54:55], v[126:127], s[16:17], v[54:55]
	v_fma_f64 v[8:9], v[126:127], s[22:23], v[8:9]
	v_add_f64 v[126:127], v[80:81], v[82:83]
	v_add_f64 v[128:129], v[74:75], v[128:129]
	v_fma_f64 v[76:77], v[130:131], s[4:5], v[54:55]
	v_add_f64 v[54:55], v[10:11], v[78:79]
	v_fma_f64 v[126:127], v[126:127], -0.5, v[10:11]
	v_fma_f64 v[8:9], v[130:131], s[4:5], v[8:9]
	v_add_f64 v[130:131], v[110:111], -v[112:113]
	v_add_f64 v[54:55], v[54:55], v[80:81]
	v_fma_f64 v[58:59], v[88:89], s[20:21], v[126:127]
	v_add_f64 v[54:55], v[54:55], v[82:83]
	v_fma_f64 v[58:59], v[92:93], s[22:23], v[58:59]
	v_add_f64 v[54:55], v[54:55], v[84:85]
	v_fma_f64 v[74:75], v[128:129], s[4:5], v[58:59]
	v_fma_f64 v[58:59], v[88:89], s[18:19], v[126:127]
	v_add_f64 v[126:127], v[78:79], v[84:85]
	v_add_f64 v[78:79], v[80:81], -v[78:79]
	v_add_f64 v[80:81], v[82:83], -v[84:85]
	v_add_f64 v[82:83], v[90:91], v[110:111]
	v_fma_f64 v[58:59], v[92:93], s[16:17], v[58:59]
	v_fma_f64 v[10:11], v[126:127], -0.5, v[10:11]
	v_add_f64 v[80:81], v[78:79], v[80:81]
	v_fma_f64 v[82:83], v[82:83], -0.5, v[4:5]
	v_fma_f64 v[58:59], v[128:129], s[4:5], v[58:59]
	v_fma_f64 v[126:127], v[92:93], s[18:19], v[10:11]
	;; [unrolled: 1-line block ×3, first 2 shown]
	v_add_f64 v[128:129], v[70:71], -v[94:95]
	v_add_f64 v[92:93], v[112:113], -v[110:111]
	v_fma_f64 v[126:127], v[88:89], s[22:23], v[126:127]
	v_fma_f64 v[10:11], v[88:89], s[16:17], v[10:11]
	v_add_f64 v[88:89], v[86:87], -v[90:91]
	v_fma_f64 v[78:79], v[80:81], s[4:5], v[126:127]
	v_add_f64 v[126:127], v[68:69], -v[96:97]
	v_add_f64 v[92:93], v[88:89], v[92:93]
	v_fma_f64 v[10:11], v[80:81], s[4:5], v[10:11]
	v_add_f64 v[80:81], v[4:5], v[86:87]
	v_fma_f64 v[84:85], v[126:127], s[18:19], v[82:83]
	v_fma_f64 v[82:83], v[126:127], s[20:21], v[82:83]
	v_add_f64 v[80:81], v[80:81], v[90:91]
	v_fma_f64 v[84:85], v[128:129], s[16:17], v[84:85]
	v_fma_f64 v[82:83], v[128:129], s[22:23], v[82:83]
	v_add_f64 v[80:81], v[80:81], v[110:111]
	v_add_f64 v[110:111], v[90:91], -v[110:111]
	v_fma_f64 v[88:89], v[92:93], s[4:5], v[84:85]
	v_fma_f64 v[84:85], v[92:93], s[4:5], v[82:83]
	v_add_f64 v[82:83], v[86:87], v[112:113]
	v_add_f64 v[80:81], v[80:81], v[112:113]
	v_add_f64 v[112:113], v[86:87], -v[112:113]
	v_add_f64 v[92:93], v[90:91], -v[86:87]
	;; [unrolled: 1-line block ×3, first 2 shown]
	v_fma_f64 v[4:5], v[82:83], -0.5, v[4:5]
	v_add_f64 v[130:131], v[92:93], v[130:131]
	v_fma_f64 v[82:83], v[128:129], s[20:21], v[4:5]
	v_fma_f64 v[4:5], v[128:129], s[18:19], v[4:5]
	v_add_f64 v[128:129], v[96:97], -v[94:95]
	v_fma_f64 v[82:83], v[126:127], s[16:17], v[82:83]
	v_fma_f64 v[4:5], v[126:127], s[22:23], v[4:5]
	v_add_f64 v[126:127], v[70:71], v[94:95]
	v_add_f64 v[128:129], v[90:91], v[128:129]
	v_fma_f64 v[92:93], v[130:131], s[4:5], v[82:83]
	v_add_f64 v[82:83], v[6:7], v[68:69]
	v_fma_f64 v[126:127], v[126:127], -0.5, v[6:7]
	v_fma_f64 v[4:5], v[130:131], s[4:5], v[4:5]
	v_add_f64 v[130:131], v[118:119], -v[124:125]
	v_add_f64 v[82:83], v[82:83], v[70:71]
	v_fma_f64 v[86:87], v[112:113], s[20:21], v[126:127]
	v_add_f64 v[82:83], v[82:83], v[94:95]
	v_fma_f64 v[86:87], v[110:111], s[22:23], v[86:87]
	;; [unrolled: 2-line block ×3, first 2 shown]
	v_fma_f64 v[86:87], v[112:113], s[18:19], v[126:127]
	v_add_f64 v[126:127], v[68:69], v[96:97]
	v_add_f64 v[68:69], v[70:71], -v[68:69]
	v_add_f64 v[70:71], v[94:95], -v[96:97]
	v_fma_f64 v[86:87], v[110:111], s[16:17], v[86:87]
	v_fma_f64 v[6:7], v[126:127], -0.5, v[6:7]
	v_add_f64 v[68:69], v[68:69], v[70:71]
	v_add_f64 v[70:71], v[98:99], -v[108:109]
	v_fma_f64 v[86:87], v[128:129], s[4:5], v[86:87]
	v_fma_f64 v[126:127], v[110:111], s[18:19], v[6:7]
	;; [unrolled: 1-line block ×3, first 2 shown]
	v_add_f64 v[128:129], v[124:125], -v[118:119]
	v_fma_f64 v[126:127], v[112:113], s[22:23], v[126:127]
	v_fma_f64 v[6:7], v[112:113], s[16:17], v[6:7]
	v_add_f64 v[112:113], v[104:105], -v[106:107]
	v_fma_f64 v[94:95], v[68:69], s[4:5], v[126:127]
	v_fma_f64 v[6:7], v[68:69], s[4:5], v[6:7]
	v_add_f64 v[68:69], v[0:1], v[114:115]
	v_add_f64 v[126:127], v[114:115], -v[116:117]
	v_add_f64 v[68:69], v[68:69], v[116:117]
	v_add_f64 v[128:129], v[126:127], v[128:129]
	;; [unrolled: 1-line block ×5, first 2 shown]
	v_fma_f64 v[68:69], v[68:69], -0.5, v[0:1]
	v_fma_f64 v[96:97], v[70:71], s[18:19], v[68:69]
	v_fma_f64 v[68:69], v[70:71], s[20:21], v[68:69]
	;; [unrolled: 1-line block ×5, first 2 shown]
	v_add_f64 v[96:97], v[114:115], v[124:125]
	v_fma_f64 v[68:69], v[128:129], s[4:5], v[68:69]
	v_add_f64 v[128:129], v[116:117], -v[114:115]
	v_add_f64 v[114:115], v[114:115], -v[124:125]
	;; [unrolled: 1-line block ×3, first 2 shown]
	v_fma_f64 v[96:97], v[96:97], -0.5, v[0:1]
	v_add_f64 v[128:129], v[128:129], v[130:131]
	v_fma_f64 v[0:1], v[112:113], s[20:21], v[96:97]
	v_fma_f64 v[96:97], v[112:113], s[18:19], v[96:97]
	v_fma_f64 v[0:1], v[70:71], s[16:17], v[0:1]
	v_fma_f64 v[70:71], v[70:71], s[22:23], v[96:97]
	v_fma_f64 v[0:1], v[128:129], s[4:5], v[0:1]
	v_fma_f64 v[96:97], v[128:129], s[4:5], v[70:71]
	v_add_f64 v[70:71], v[2:3], v[98:99]
	v_add_f64 v[128:129], v[108:109], -v[106:107]
	v_add_f64 v[70:71], v[70:71], v[104:105]
	v_add_f64 v[70:71], v[70:71], v[106:107]
	;; [unrolled: 1-line block ×4, first 2 shown]
	v_fma_f64 v[70:71], v[70:71], -0.5, v[2:3]
	v_fma_f64 v[124:125], v[114:115], s[20:21], v[70:71]
	v_fma_f64 v[70:71], v[114:115], s[18:19], v[70:71]
	;; [unrolled: 1-line block ×3, first 2 shown]
	v_add_f64 v[124:125], v[98:99], -v[104:105]
	v_fma_f64 v[70:71], v[116:117], s[16:17], v[70:71]
	v_add_f64 v[124:125], v[124:125], v[128:129]
	v_fma_f64 v[128:129], v[124:125], s[4:5], v[118:119]
	v_add_f64 v[118:119], v[98:99], v[108:109]
	v_add_f64 v[98:99], v[104:105], -v[98:99]
	v_add_f64 v[104:105], v[106:107], -v[108:109]
	v_fma_f64 v[70:71], v[124:125], s[4:5], v[70:71]
	v_fma_f64 v[118:119], v[118:119], -0.5, v[2:3]
	v_add_f64 v[98:99], v[98:99], v[104:105]
	v_fma_f64 v[2:3], v[116:117], s[18:19], v[118:119]
	v_fma_f64 v[104:105], v[116:117], s[20:21], v[118:119]
	;; [unrolled: 1-line block ×6, first 2 shown]
	v_mul_u32_u24_e32 v104, 0x96, v166
	v_add_lshl_u32 v104, v104, v167, 4
	ds_write_b128 v104, v[16:19]
	ds_write_b128 v104, v[24:27] offset:480
	ds_write_b128 v104, v[32:35] offset:960
	;; [unrolled: 1-line block ×3, first 2 shown]
	v_mul_u32_u24_e32 v16, 0x96, v168
	s_movk_i32 s4, 0x96
	v_add_lshl_u32 v16, v16, v169, 4
	buffer_store_dword v104, off, s[24:27], 0 offset:992 ; 4-byte Folded Spill
	ds_write_b128 v104, v[20:23] offset:1920
	ds_write_b128 v16, v[36:39]
	ds_write_b128 v16, v[44:47] offset:480
	ds_write_b128 v16, v[48:51] offset:960
	ds_write_b128 v16, v[12:15] offset:1440
	v_mad_legacy_u16 v12, v170, s4, v171
	v_lshlrev_b32_e32 v12, 4, v12
	buffer_store_dword v16, off, s[24:27], 0 offset:996 ; 4-byte Folded Spill
	ds_write_b128 v16, v[40:43] offset:1920
	ds_write_b128 v12, v[52:55]
	ds_write_b128 v12, v[72:75] offset:480
	ds_write_b128 v12, v[76:79] offset:960
	ds_write_b128 v12, v[8:11] offset:1440
	v_mad_legacy_u16 v8, v177, s4, v178
	v_lshlrev_b32_e32 v8, 4, v8
	;; [unrolled: 8-line block ×3, first 2 shown]
	buffer_store_dword v8, off, s[24:27], 0 offset:1004 ; 4-byte Folded Spill
	ds_write_b128 v8, v[84:87] offset:1920
	ds_write_b128 v4, v[110:113]
	ds_write_b128 v4, v[126:129] offset:480
	ds_write_b128 v4, v[0:3] offset:960
	;; [unrolled: 1-line block ×3, first 2 shown]
	buffer_store_dword v4, off, s[24:27], 0 offset:1008 ; 4-byte Folded Spill
	ds_write_b128 v4, v[68:71] offset:1920
	s_waitcnt vmcnt(0) lgkmcnt(0)
	s_barrier
	ds_read_b128 v[96:99], v164
	ds_read_b128 v[12:15], v164 offset:12000
	ds_read_b128 v[4:7], v164 offset:24000
	ds_read_b128 v[0:3], v164 offset:1440
	ds_read_b128 v[16:19], v164 offset:13440
	ds_read_b128 v[8:11], v164 offset:25440
	ds_read_b128 v[92:95], v164 offset:2880
	ds_read_b128 v[24:27], v164 offset:14880
	ds_read_b128 v[20:23], v164 offset:26880
	ds_read_b128 v[88:91], v164 offset:4320
	ds_read_b128 v[32:35], v164 offset:16320
	ds_read_b128 v[28:31], v164 offset:28320
	ds_read_b128 v[84:87], v164 offset:5760
	ds_read_b128 v[40:43], v164 offset:17760
	ds_read_b128 v[36:39], v164 offset:29760
	ds_read_b128 v[80:83], v164 offset:7200
	ds_read_b128 v[48:51], v164 offset:19200
	ds_read_b128 v[44:47], v164 offset:31200
	ds_read_b128 v[76:79], v164 offset:8640
	ds_read_b128 v[56:59], v164 offset:20640
	ds_read_b128 v[52:55], v164 offset:32640
	ds_read_b128 v[72:75], v164 offset:10080
	ds_read_b128 v[108:111], v164 offset:22080
	ds_read_b128 v[104:107], v164 offset:34080
	s_and_saveexec_b64 s[4:5], s[0:1]
	s_cbranch_execz .LBB0_13
; %bb.12:
	ds_read_b128 v[60:63], v164 offset:23520
	ds_read_b128 v[68:71], v164 offset:11520
	;; [unrolled: 1-line block ×3, first 2 shown]
.LBB0_13:
	s_or_b64 exec, exec, s[4:5]
	buffer_load_dword v178, off, s[24:27], 0 offset:8 ; 4-byte Folded Reload
	s_movk_i32 s4, 0xffc4
	s_mov_b32 s17, 0xbfebb67a
	s_movk_i32 s14, 0x1c2
	s_waitcnt vmcnt(0)
	v_lshlrev_b32_e32 v118, 5, v178
	global_load_dwordx4 v[114:117], v118, s[12:13] offset:2256
	global_load_dwordx4 v[124:127], v118, s[12:13] offset:2240
	s_waitcnt vmcnt(0) lgkmcnt(14)
	v_mul_f64 v[112:113], v[14:15], v[126:127]
	v_fma_f64 v[162:163], v[12:13], v[124:125], -v[112:113]
	v_mul_f64 v[12:13], v[12:13], v[126:127]
	buffer_store_dword v124, off, s[24:27], 0 offset:1028 ; 4-byte Folded Spill
	s_nop 0
	buffer_store_dword v125, off, s[24:27], 0 offset:1032 ; 4-byte Folded Spill
	buffer_store_dword v126, off, s[24:27], 0 offset:1036 ; 4-byte Folded Spill
	;; [unrolled: 1-line block ×3, first 2 shown]
	v_fma_f64 v[166:167], v[14:15], v[124:125], v[12:13]
	v_mul_f64 v[12:13], v[6:7], v[116:117]
	v_fma_f64 v[168:169], v[4:5], v[114:115], -v[12:13]
	v_mul_f64 v[4:5], v[4:5], v[116:117]
	buffer_store_dword v114, off, s[24:27], 0 offset:1012 ; 4-byte Folded Spill
	s_nop 0
	buffer_store_dword v115, off, s[24:27], 0 offset:1016 ; 4-byte Folded Spill
	buffer_store_dword v116, off, s[24:27], 0 offset:1020 ; 4-byte Folded Spill
	;; [unrolled: 1-line block ×3, first 2 shown]
	v_fma_f64 v[170:171], v[6:7], v[114:115], v[4:5]
	v_add_co_u32_e64 v4, s[4:5], s4, v178
	v_addc_co_u32_e64 v5, s[4:5], 0, -1, s[4:5]
	v_cmp_gt_u16_e64 s[4:5], 60, v178
	v_cndmask_b32_e64 v5, v5, v172, s[4:5]
	v_cndmask_b32_e64 v4, v4, v193, s[4:5]
	v_lshlrev_b64 v[5:6], 5, v[4:5]
	v_mov_b32_e32 v7, s13
	v_add_co_u32_e64 v5, s[4:5], s12, v5
	v_addc_co_u32_e64 v6, s[4:5], v7, v6, s[4:5]
	global_load_dwordx4 v[12:15], v[5:6], off offset:2256
	global_load_dwordx4 v[114:117], v[5:6], off offset:2240
	s_waitcnt vmcnt(0)
	v_mul_f64 v[5:6], v[18:19], v[116:117]
	v_fma_f64 v[112:113], v[16:17], v[114:115], -v[5:6]
	v_mul_f64 v[5:6], v[16:17], v[116:117]
	buffer_store_dword v114, off, s[24:27], 0 offset:1076 ; 4-byte Folded Spill
	s_nop 0
	buffer_store_dword v115, off, s[24:27], 0 offset:1080 ; 4-byte Folded Spill
	buffer_store_dword v116, off, s[24:27], 0 offset:1084 ; 4-byte Folded Spill
	buffer_store_dword v117, off, s[24:27], 0 offset:1088 ; 4-byte Folded Spill
	v_fma_f64 v[114:115], v[18:19], v[114:115], v[5:6]
	v_mul_f64 v[5:6], v[10:11], v[14:15]
	v_fma_f64 v[116:117], v[8:9], v[12:13], -v[5:6]
	v_mul_f64 v[5:6], v[8:9], v[14:15]
	buffer_store_dword v12, off, s[24:27], 0 offset:1044 ; 4-byte Folded Spill
	s_nop 0
	buffer_store_dword v13, off, s[24:27], 0 offset:1048 ; 4-byte Folded Spill
	buffer_store_dword v14, off, s[24:27], 0 offset:1052 ; 4-byte Folded Spill
	;; [unrolled: 1-line block ×3, first 2 shown]
	v_fma_f64 v[160:161], v[10:11], v[12:13], v[5:6]
	global_load_dwordx4 v[8:11], v118, s[12:13] offset:3216
	global_load_dwordx4 v[12:15], v118, s[12:13] offset:3200
	s_waitcnt vmcnt(0)
	v_mul_f64 v[5:6], v[26:27], v[14:15]
	v_fma_f64 v[118:119], v[24:25], v[12:13], -v[5:6]
	v_mul_f64 v[5:6], v[24:25], v[14:15]
	buffer_store_dword v12, off, s[24:27], 0 offset:1092 ; 4-byte Folded Spill
	s_nop 0
	buffer_store_dword v13, off, s[24:27], 0 offset:1096 ; 4-byte Folded Spill
	buffer_store_dword v14, off, s[24:27], 0 offset:1100 ; 4-byte Folded Spill
	;; [unrolled: 1-line block ×3, first 2 shown]
	v_fma_f64 v[154:155], v[26:27], v[12:13], v[5:6]
	v_mul_f64 v[5:6], v[22:23], v[10:11]
	v_fma_f64 v[156:157], v[20:21], v[8:9], -v[5:6]
	v_mul_f64 v[5:6], v[20:21], v[10:11]
	buffer_store_dword v8, off, s[24:27], 0 offset:1060 ; 4-byte Folded Spill
	s_nop 0
	buffer_store_dword v9, off, s[24:27], 0 offset:1064 ; 4-byte Folded Spill
	buffer_store_dword v10, off, s[24:27], 0 offset:1068 ; 4-byte Folded Spill
	;; [unrolled: 1-line block ×3, first 2 shown]
	v_fma_f64 v[158:159], v[22:23], v[8:9], v[5:6]
	v_lshrrev_b16_e32 v5, 1, v122
	v_mul_u32_u24_e32 v5, 0xda75, v5
	v_lshrrev_b32_e32 v172, 22, v5
	v_mul_lo_u16_e32 v5, 0x96, v172
	v_sub_u16_e32 v177, v122, v5
	v_lshlrev_b16_e32 v5, 5, v177
	v_add_co_u32_e64 v5, s[4:5], s12, v5
	v_addc_co_u32_e64 v6, s[4:5], 0, v7, s[4:5]
	global_load_dwordx4 v[8:11], v[5:6], off offset:2256
	global_load_dwordx4 v[12:15], v[5:6], off offset:2240
	s_waitcnt vmcnt(0) lgkmcnt(13)
	v_mul_f64 v[5:6], v[34:35], v[14:15]
	v_fma_f64 v[138:139], v[32:33], v[12:13], -v[5:6]
	v_mul_f64 v[5:6], v[32:33], v[14:15]
	buffer_store_dword v12, off, s[24:27], 0 offset:1124 ; 4-byte Folded Spill
	s_nop 0
	buffer_store_dword v13, off, s[24:27], 0 offset:1128 ; 4-byte Folded Spill
	buffer_store_dword v14, off, s[24:27], 0 offset:1132 ; 4-byte Folded Spill
	;; [unrolled: 1-line block ×3, first 2 shown]
	v_fma_f64 v[144:145], v[34:35], v[12:13], v[5:6]
	s_waitcnt lgkmcnt(12)
	v_mul_f64 v[5:6], v[30:31], v[10:11]
	v_fma_f64 v[146:147], v[28:29], v[8:9], -v[5:6]
	v_mul_f64 v[5:6], v[28:29], v[10:11]
	buffer_store_dword v8, off, s[24:27], 0 offset:1108 ; 4-byte Folded Spill
	s_nop 0
	buffer_store_dword v9, off, s[24:27], 0 offset:1112 ; 4-byte Folded Spill
	buffer_store_dword v10, off, s[24:27], 0 offset:1116 ; 4-byte Folded Spill
	buffer_store_dword v11, off, s[24:27], 0 offset:1120 ; 4-byte Folded Spill
	v_fma_f64 v[152:153], v[30:31], v[8:9], v[5:6]
	v_lshrrev_b16_e32 v5, 1, v120
	v_mul_u32_u24_e32 v5, 0xda75, v5
	v_lshrrev_b32_e32 v5, 22, v5
	v_mul_lo_u16_e32 v5, 0x96, v5
	v_sub_u16_e32 v31, v120, v5
	v_lshlrev_b16_e32 v5, 5, v31
	v_add_co_u32_e64 v5, s[4:5], s12, v5
	v_addc_co_u32_e64 v6, s[4:5], 0, v7, s[4:5]
	global_load_dwordx4 v[8:11], v[5:6], off offset:2256
	global_load_dwordx4 v[12:15], v[5:6], off offset:2240
	s_waitcnt vmcnt(0) lgkmcnt(10)
	v_mul_f64 v[5:6], v[42:43], v[14:15]
	v_fma_f64 v[130:131], v[40:41], v[12:13], -v[5:6]
	v_mul_f64 v[5:6], v[40:41], v[14:15]
	buffer_store_dword v12, off, s[24:27], 0 offset:1156 ; 4-byte Folded Spill
	s_nop 0
	buffer_store_dword v13, off, s[24:27], 0 offset:1160 ; 4-byte Folded Spill
	buffer_store_dword v14, off, s[24:27], 0 offset:1164 ; 4-byte Folded Spill
	buffer_store_dword v15, off, s[24:27], 0 offset:1168 ; 4-byte Folded Spill
	v_mov_b32_e32 v41, v178
	v_fma_f64 v[132:133], v[42:43], v[12:13], v[5:6]
	s_waitcnt lgkmcnt(9)
	v_mul_f64 v[5:6], v[38:39], v[10:11]
	v_fma_f64 v[134:135], v[36:37], v[8:9], -v[5:6]
	v_mul_f64 v[5:6], v[36:37], v[10:11]
	buffer_store_dword v8, off, s[24:27], 0 offset:1140 ; 4-byte Folded Spill
	s_nop 0
	buffer_store_dword v9, off, s[24:27], 0 offset:1144 ; 4-byte Folded Spill
	buffer_store_dword v10, off, s[24:27], 0 offset:1148 ; 4-byte Folded Spill
	buffer_store_dword v11, off, s[24:27], 0 offset:1152 ; 4-byte Folded Spill
	v_fma_f64 v[136:137], v[38:39], v[8:9], v[5:6]
	v_lshrrev_b16_e32 v5, 1, v176
	v_mul_u32_u24_e32 v5, 0xda75, v5
	v_lshrrev_b32_e32 v5, 22, v5
	v_mul_lo_u16_e32 v5, 0x96, v5
	v_sub_u16_e32 v32, v176, v5
	v_lshlrev_b16_e32 v5, 5, v32
	v_add_co_u32_e64 v5, s[4:5], s12, v5
	v_addc_co_u32_e64 v6, s[4:5], 0, v7, s[4:5]
	global_load_dwordx4 v[8:11], v[5:6], off offset:2256
	global_load_dwordx4 v[12:15], v[5:6], off offset:2240
	s_waitcnt vmcnt(0) lgkmcnt(7)
	v_mul_f64 v[5:6], v[50:51], v[14:15]
	v_fma_f64 v[29:30], v[48:49], v[12:13], -v[5:6]
	v_mul_f64 v[5:6], v[48:49], v[14:15]
	buffer_store_dword v12, off, s[24:27], 0 offset:1188 ; 4-byte Folded Spill
	s_nop 0
	buffer_store_dword v13, off, s[24:27], 0 offset:1192 ; 4-byte Folded Spill
	buffer_store_dword v14, off, s[24:27], 0 offset:1196 ; 4-byte Folded Spill
	buffer_store_dword v15, off, s[24:27], 0 offset:1200 ; 4-byte Folded Spill
	v_fma_f64 v[124:125], v[50:51], v[12:13], v[5:6]
	s_waitcnt lgkmcnt(6)
	v_mul_f64 v[5:6], v[46:47], v[10:11]
	v_fma_f64 v[126:127], v[44:45], v[8:9], -v[5:6]
	v_mul_f64 v[5:6], v[44:45], v[10:11]
	buffer_store_dword v8, off, s[24:27], 0 offset:1172 ; 4-byte Folded Spill
	s_nop 0
	buffer_store_dword v9, off, s[24:27], 0 offset:1176 ; 4-byte Folded Spill
	buffer_store_dword v10, off, s[24:27], 0 offset:1180 ; 4-byte Folded Spill
	buffer_store_dword v11, off, s[24:27], 0 offset:1184 ; 4-byte Folded Spill
	v_fma_f64 v[128:129], v[46:47], v[8:9], v[5:6]
	v_lshrrev_b16_e32 v5, 1, v173
	v_mul_u32_u24_e32 v5, 0xda75, v5
	v_lshrrev_b32_e32 v33, 22, v5
	v_mul_lo_u16_e32 v5, 0x96, v33
	v_sub_u16_e32 v34, v173, v5
	v_lshlrev_b16_e32 v5, 5, v34
	v_add_co_u32_e64 v5, s[4:5], s12, v5
	v_addc_co_u32_e64 v6, s[4:5], 0, v7, s[4:5]
	global_load_dwordx4 v[8:11], v[5:6], off offset:2256
	global_load_dwordx4 v[17:20], v[5:6], off offset:2240
	s_waitcnt vmcnt(0) lgkmcnt(4)
	v_mul_f64 v[5:6], v[58:59], v[19:20]
	v_fma_f64 v[15:16], v[56:57], v[17:18], -v[5:6]
	v_mul_f64 v[5:6], v[56:57], v[19:20]
	buffer_store_dword v17, off, s[24:27], 0 offset:1220 ; 4-byte Folded Spill
	s_nop 0
	buffer_store_dword v18, off, s[24:27], 0 offset:1224 ; 4-byte Folded Spill
	buffer_store_dword v19, off, s[24:27], 0 offset:1228 ; 4-byte Folded Spill
	buffer_store_dword v20, off, s[24:27], 0 offset:1232 ; 4-byte Folded Spill
	;; [unrolled: 30-line block ×3, first 2 shown]
	v_fma_f64 v[17:18], v[110:111], v[17:18], v[5:6]
	s_waitcnt lgkmcnt(0)
	v_mul_f64 v[5:6], v[106:107], v[10:11]
	v_fma_f64 v[19:20], v[104:105], v[8:9], -v[5:6]
	v_mul_f64 v[5:6], v[104:105], v[10:11]
	buffer_store_dword v8, off, s[24:27], 0 offset:1236 ; 4-byte Folded Spill
	s_nop 0
	buffer_store_dword v9, off, s[24:27], 0 offset:1240 ; 4-byte Folded Spill
	buffer_store_dword v10, off, s[24:27], 0 offset:1244 ; 4-byte Folded Spill
	;; [unrolled: 1-line block ×3, first 2 shown]
	v_fma_f64 v[23:24], v[106:107], v[8:9], v[5:6]
	v_lshrrev_b16_e32 v5, 1, v175
	v_mul_u32_u24_e32 v5, 0xda75, v5
	v_lshrrev_b32_e32 v5, 22, v5
	v_mul_lo_u16_e32 v5, 0x96, v5
	v_sub_u16_e32 v36, v175, v5
	v_lshlrev_b16_e32 v5, 5, v36
	v_add_co_u32_e64 v5, s[4:5], s12, v5
	v_addc_co_u32_e64 v6, s[4:5], 0, v7, s[4:5]
	global_load_dwordx4 v[37:40], v[5:6], off offset:2256
	global_load_dwordx4 v[9:12], v[5:6], off offset:2240
	s_mov_b32 s4, 0xe8584caa
	s_mov_b32 s5, 0x3febb67a
	;; [unrolled: 1-line block ×3, first 2 shown]
	s_waitcnt vmcnt(0)
	v_mul_f64 v[5:6], v[62:63], v[11:12]
	v_mul_f64 v[7:8], v[60:61], v[11:12]
	v_fma_f64 v[5:6], v[60:61], v[9:10], -v[5:6]
	buffer_store_dword v9, off, s[24:27], 0 offset:1316 ; 4-byte Folded Spill
	s_nop 0
	buffer_store_dword v10, off, s[24:27], 0 offset:1320 ; 4-byte Folded Spill
	buffer_store_dword v11, off, s[24:27], 0 offset:1324 ; 4-byte Folded Spill
	;; [unrolled: 1-line block ×3, first 2 shown]
	v_fma_f64 v[11:12], v[62:63], v[9:10], v[7:8]
	v_mul_f64 v[7:8], v[66:67], v[39:40]
	v_mul_f64 v[9:10], v[64:65], v[39:40]
	v_fma_f64 v[7:8], v[64:65], v[37:38], -v[7:8]
	buffer_store_dword v37, off, s[24:27], 0 offset:1300 ; 4-byte Folded Spill
	s_nop 0
	buffer_store_dword v38, off, s[24:27], 0 offset:1304 ; 4-byte Folded Spill
	buffer_store_dword v39, off, s[24:27], 0 offset:1308 ; 4-byte Folded Spill
	;; [unrolled: 1-line block ×3, first 2 shown]
	v_add_f64 v[39:40], v[166:167], -v[170:171]
	s_waitcnt vmcnt(0)
	s_barrier
	v_fma_f64 v[9:10], v[66:67], v[37:38], v[9:10]
	v_add_f64 v[37:38], v[96:97], v[162:163]
	v_add_f64 v[60:61], v[37:38], v[168:169]
	;; [unrolled: 1-line block ×3, first 2 shown]
	v_fma_f64 v[37:38], v[37:38], -0.5, v[96:97]
	v_fma_f64 v[96:97], v[39:40], s[4:5], v[37:38]
	v_fma_f64 v[64:65], v[39:40], s[16:17], v[37:38]
	v_add_f64 v[37:38], v[98:99], v[166:167]
	v_add_f64 v[39:40], v[162:163], -v[168:169]
	v_add_f64 v[62:63], v[37:38], v[170:171]
	v_add_f64 v[37:38], v[166:167], v[170:171]
	v_fma_f64 v[37:38], v[37:38], -0.5, v[98:99]
	v_fma_f64 v[98:99], v[39:40], s[16:17], v[37:38]
	v_fma_f64 v[66:67], v[39:40], s[4:5], v[37:38]
	v_add_f64 v[37:38], v[0:1], v[112:113]
	v_add_f64 v[39:40], v[154:155], -v[158:159]
	ds_write_b128 v164, v[60:63]
	ds_write_b128 v164, v[96:99] offset:2400
	ds_write_b128 v164, v[64:67] offset:4800
	v_add_f64 v[104:105], v[37:38], v[116:117]
	v_add_f64 v[37:38], v[112:113], v[116:117]
	v_fma_f64 v[0:1], v[37:38], -0.5, v[0:1]
	v_add_f64 v[37:38], v[114:115], -v[160:161]
	v_fma_f64 v[108:109], v[37:38], s[4:5], v[0:1]
	v_fma_f64 v[0:1], v[37:38], s[16:17], v[0:1]
	v_add_f64 v[37:38], v[2:3], v[114:115]
	v_add_f64 v[106:107], v[37:38], v[160:161]
	;; [unrolled: 1-line block ×3, first 2 shown]
	v_fma_f64 v[2:3], v[37:38], -0.5, v[2:3]
	v_add_f64 v[37:38], v[112:113], -v[116:117]
	v_fma_f64 v[110:111], v[37:38], s[16:17], v[2:3]
	v_fma_f64 v[2:3], v[37:38], s[4:5], v[2:3]
	v_add_f64 v[37:38], v[92:93], v[118:119]
	v_add_f64 v[112:113], v[37:38], v[156:157]
	;; [unrolled: 1-line block ×3, first 2 shown]
	v_fma_f64 v[37:38], v[37:38], -0.5, v[92:93]
	v_fma_f64 v[116:117], v[39:40], s[4:5], v[37:38]
	v_fma_f64 v[92:93], v[39:40], s[16:17], v[37:38]
	v_add_f64 v[37:38], v[94:95], v[154:155]
	v_add_f64 v[39:40], v[118:119], -v[156:157]
	v_add_f64 v[114:115], v[37:38], v[158:159]
	v_add_f64 v[37:38], v[154:155], v[158:159]
	v_fma_f64 v[37:38], v[37:38], -0.5, v[94:95]
	v_fma_f64 v[118:119], v[39:40], s[16:17], v[37:38]
	v_fma_f64 v[94:95], v[39:40], s[4:5], v[37:38]
	v_add_f64 v[37:38], v[88:89], v[138:139]
	v_add_f64 v[39:40], v[144:145], -v[152:153]
	v_add_f64 v[154:155], v[37:38], v[146:147]
	v_add_f64 v[37:38], v[138:139], v[146:147]
	;; [unrolled: 7-line block ×6, first 2 shown]
	v_add_f64 v[29:30], v[29:30], -v[126:127]
	v_fma_f64 v[37:38], v[37:38], -0.5, v[80:81]
	v_fma_f64 v[80:81], v[39:40], s[4:5], v[37:38]
	v_fma_f64 v[178:179], v[39:40], s[16:17], v[37:38]
	v_add_f64 v[37:38], v[82:83], v[124:125]
	v_add_f64 v[132:133], v[37:38], v[128:129]
	;; [unrolled: 1-line block ×3, first 2 shown]
	v_fma_f64 v[37:38], v[37:38], -0.5, v[82:83]
	v_fma_f64 v[82:83], v[29:30], s[16:17], v[37:38]
	v_fma_f64 v[180:181], v[29:30], s[4:5], v[37:38]
	v_add_f64 v[29:30], v[76:77], v[15:16]
	v_add_f64 v[37:38], v[25:26], -v[27:28]
	v_add_f64 v[124:125], v[29:30], v[21:22]
	v_add_f64 v[29:30], v[15:16], v[21:22]
	v_add_f64 v[15:16], v[15:16], -v[21:22]
	v_fma_f64 v[29:30], v[29:30], -0.5, v[76:77]
	v_fma_f64 v[76:77], v[37:38], s[4:5], v[29:30]
	v_fma_f64 v[182:183], v[37:38], s[16:17], v[29:30]
	v_add_f64 v[29:30], v[78:79], v[25:26]
	v_add_f64 v[25:26], v[25:26], v[27:28]
	;; [unrolled: 1-line block ×3, first 2 shown]
	v_fma_f64 v[25:26], v[25:26], -0.5, v[78:79]
	v_add_f64 v[27:28], v[17:18], -v[23:24]
	v_fma_f64 v[78:79], v[15:16], s[16:17], v[25:26]
	v_fma_f64 v[184:185], v[15:16], s[4:5], v[25:26]
	v_add_f64 v[15:16], v[72:73], v[13:14]
	v_add_f64 v[25:26], v[15:16], v[19:20]
	;; [unrolled: 1-line block ×3, first 2 shown]
	v_add_f64 v[13:14], v[13:14], -v[19:20]
	v_add_f64 v[19:20], v[11:12], -v[9:10]
	v_fma_f64 v[21:22], v[15:16], -0.5, v[72:73]
	v_fma_f64 v[15:16], v[27:28], s[4:5], v[21:22]
	v_fma_f64 v[21:22], v[27:28], s[16:17], v[21:22]
	v_add_f64 v[27:28], v[74:75], v[17:18]
	v_add_f64 v[17:18], v[17:18], v[23:24]
	;; [unrolled: 1-line block ×3, first 2 shown]
	v_fma_f64 v[23:24], v[17:18], -0.5, v[74:75]
	v_fma_f64 v[17:18], v[13:14], s[16:17], v[23:24]
	v_fma_f64 v[23:24], v[13:14], s[4:5], v[23:24]
	v_add_f64 v[13:14], v[5:6], v[7:8]
	v_fma_f64 v[13:14], v[13:14], -0.5, v[68:69]
	v_fma_f64 v[144:145], v[19:20], s[4:5], v[13:14]
	v_fma_f64 v[136:137], v[19:20], s[16:17], v[13:14]
	v_add_f64 v[13:14], v[11:12], v[9:10]
	v_add_f64 v[19:20], v[5:6], -v[7:8]
	v_fma_f64 v[13:14], v[13:14], -0.5, v[70:71]
	v_fma_f64 v[146:147], v[19:20], s[16:17], v[13:14]
	v_fma_f64 v[138:139], v[19:20], s[4:5], v[13:14]
	v_cmp_lt_u16_e64 s[4:5], 59, v41
	v_mov_b32_e32 v13, 0x1c2
	v_cndmask_b32_e64 v13, 0, v13, s[4:5]
	v_add_lshl_u32 v4, v4, v13, 4
	ds_write_b128 v4, v[104:107]
	ds_write_b128 v4, v[108:111] offset:2400
	buffer_store_dword v4, off, s[24:27], 0 offset:1272 ; 4-byte Folded Spill
	ds_write_b128 v4, v[0:3] offset:4800
	ds_write_b128 v164, v[112:115] offset:7680
	;; [unrolled: 1-line block ×4, first 2 shown]
	v_mad_legacy_u16 v0, v172, s14, v177
	v_lshlrev_b32_e32 v0, 4, v0
	ds_write_b128 v0, v[154:157]
	ds_write_b128 v0, v[88:91] offset:2400
	buffer_store_dword v0, off, s[24:27], 0 offset:1276 ; 4-byte Folded Spill
	ds_write_b128 v0, v[158:161] offset:4800
	v_lshlrev_b32_e32 v0, 4, v31
	ds_write_b128 v0, v[166:169] offset:14400
	ds_write_b128 v0, v[84:87] offset:16800
	buffer_store_dword v0, off, s[24:27], 0 offset:1280 ; 4-byte Folded Spill
	ds_write_b128 v0, v[173:176] offset:19200
	v_lshlrev_b32_e32 v0, 4, v32
	ds_write_b128 v0, v[130:133] offset:21600
	ds_write_b128 v0, v[80:83] offset:24000
	buffer_store_dword v0, off, s[24:27], 0 offset:1284 ; 4-byte Folded Spill
	ds_write_b128 v0, v[178:181] offset:26400
	v_mad_legacy_u16 v0, v33, s14, v34
	v_lshlrev_b32_e32 v0, 4, v0
	ds_write_b128 v0, v[124:127]
	ds_write_b128 v0, v[76:79] offset:2400
	buffer_store_dword v0, off, s[24:27], 0 offset:1288 ; 4-byte Folded Spill
	ds_write_b128 v0, v[182:185] offset:4800
	v_lshlrev_b32_e32 v0, 4, v35
	ds_write_b128 v0, v[25:28] offset:28800
	ds_write_b128 v0, v[15:18] offset:31200
	buffer_store_dword v0, off, s[24:27], 0 offset:1292 ; 4-byte Folded Spill
	ds_write_b128 v0, v[21:24] offset:33600
	v_lshlrev_b32_e32 v0, 4, v36
	buffer_store_dword v0, off, s[24:27], 0 offset:1268 ; 4-byte Folded Spill
	s_and_saveexec_b64 s[4:5], s[0:1]
	s_cbranch_execz .LBB0_15
; %bb.14:
	v_add_f64 v[0:1], v[70:71], v[11:12]
	v_add_f64 v[4:5], v[68:69], v[5:6]
	v_add_f64 v[2:3], v[0:1], v[9:10]
	v_add_f64 v[0:1], v[4:5], v[7:8]
	buffer_load_dword v4, off, s[24:27], 0 offset:1268 ; 4-byte Folded Reload
	s_waitcnt vmcnt(0)
	ds_write_b128 v4, v[144:147] offset:31200
	ds_write_b128 v4, v[0:3] offset:28800
	;; [unrolled: 1-line block ×3, first 2 shown]
.LBB0_15:
	s_or_b64 exec, exec, s[4:5]
	v_mov_b32_e32 v0, s15
	v_addc_co_u32_e64 v32, s[2:3], 0, v0, s[2:3]
	v_lshlrev_b32_e32 v28, 6, v41
	v_add_co_u32_e64 v30, s[2:3], s12, v28
	v_mov_b32_e32 v41, s13
	v_addc_co_u32_e64 v31, s[2:3], 0, v41, s[2:3]
	s_movk_i32 s4, 0x1b80
	v_add_co_u32_e64 v28, s[2:3], s4, v30
	v_addc_co_u32_e64 v29, s[2:3], 0, v31, s[2:3]
	s_movk_i32 s18, 0x1000
	v_add_co_u32_e64 v30, s[2:3], s18, v30
	v_addc_co_u32_e64 v31, s[2:3], 0, v31, s[2:3]
	s_waitcnt vmcnt(0) lgkmcnt(0)
	s_barrier
	ds_read_b128 v[176:179], v164
	ds_read_b128 v[4:7], v164 offset:7200
	ds_read_b128 v[8:11], v164 offset:14400
	;; [unrolled: 1-line block ×24, first 2 shown]
	global_load_dwordx4 v[68:71], v[30:31], off offset:2944
	global_load_dwordx4 v[60:63], v[28:29], off offset:48
	;; [unrolled: 1-line block ×4, first 2 shown]
	s_mov_b32 s15, 0xbfee6f0e
	s_mov_b32 s17, 0xbfe2cf23
	s_waitcnt vmcnt(3) lgkmcnt(14)
	v_mul_f64 v[28:29], v[6:7], v[70:71]
	v_fma_f64 v[204:205], v[4:5], v[68:69], -v[28:29]
	v_mul_f64 v[4:5], v[4:5], v[70:71]
	v_fma_f64 v[194:195], v[6:7], v[68:69], v[4:5]
	s_waitcnt vmcnt(0)
	v_mul_f64 v[4:5], v[10:11], v[74:75]
	v_fma_f64 v[208:209], v[8:9], v[72:73], -v[4:5]
	v_mul_f64 v[4:5], v[8:9], v[74:75]
	v_fma_f64 v[198:199], v[10:11], v[72:73], v[4:5]
	v_mul_f64 v[4:5], v[14:15], v[66:67]
	v_fma_f64 v[212:213], v[12:13], v[64:65], -v[4:5]
	v_mul_f64 v[4:5], v[12:13], v[66:67]
	v_fma_f64 v[200:201], v[14:15], v[64:65], v[4:5]
	;; [unrolled: 4-line block ×3, first 2 shown]
	v_lshlrev_b32_e32 v4, 6, v193
	v_add_co_u32_e64 v6, s[2:3], s12, v4
	v_addc_co_u32_e64 v7, s[2:3], 0, v41, s[2:3]
	v_add_co_u32_e64 v4, s[2:3], s4, v6
	v_addc_co_u32_e64 v5, s[2:3], 0, v7, s[2:3]
	;; [unrolled: 2-line block ×3, first 2 shown]
	global_load_dwordx4 v[168:171], v[6:7], off offset:2944
	global_load_dwordx4 v[76:79], v[4:5], off offset:48
	;; [unrolled: 1-line block ×4, first 2 shown]
	s_waitcnt vmcnt(3)
	v_mul_f64 v[4:5], v[22:23], v[170:171]
	v_fma_f64 v[206:207], v[20:21], v[168:169], -v[4:5]
	v_mul_f64 v[4:5], v[20:21], v[170:171]
	v_fma_f64 v[210:211], v[22:23], v[168:169], v[4:5]
	s_waitcnt vmcnt(0)
	v_mul_f64 v[4:5], v[26:27], v[82:83]
	v_fma_f64 v[220:221], v[24:25], v[80:81], -v[4:5]
	v_mul_f64 v[4:5], v[24:25], v[82:83]
	v_fma_f64 v[214:215], v[26:27], v[80:81], v[4:5]
	v_mul_f64 v[4:5], v[35:36], v[30:31]
	v_fma_f64 v[224:225], v[33:34], v[28:29], -v[4:5]
	v_mul_f64 v[4:5], v[33:34], v[30:31]
	v_fma_f64 v[216:217], v[35:36], v[28:29], v[4:5]
	v_mul_f64 v[4:5], v[86:87], v[78:79]
	v_add_f64 v[35:36], v[198:199], -v[200:201]
	v_fma_f64 v[228:229], v[84:85], v[76:77], -v[4:5]
	v_mul_f64 v[4:5], v[84:85], v[78:79]
	v_fma_f64 v[218:219], v[86:87], v[76:77], v[4:5]
	v_lshlrev_b32_e32 v4, 6, v192
	v_add_co_u32_e64 v6, s[2:3], s12, v4
	v_addc_co_u32_e64 v7, s[2:3], 0, v41, s[2:3]
	v_add_co_u32_e64 v4, s[2:3], s4, v6
	v_addc_co_u32_e64 v5, s[2:3], 0, v7, s[2:3]
	;; [unrolled: 2-line block ×3, first 2 shown]
	global_load_dwordx4 v[88:91], v[6:7], off offset:2944
	global_load_dwordx4 v[84:87], v[4:5], off offset:48
	;; [unrolled: 1-line block ×4, first 2 shown]
	v_add_f64 v[43:44], v[216:217], -v[218:219]
	s_waitcnt vmcnt(3) lgkmcnt(13)
	v_mul_f64 v[4:5], v[106:107], v[90:91]
	v_fma_f64 v[222:223], v[104:105], v[88:89], -v[4:5]
	v_mul_f64 v[4:5], v[104:105], v[90:91]
	v_fma_f64 v[6:7], v[106:107], v[88:89], v[4:5]
	s_waitcnt vmcnt(0) lgkmcnt(12)
	v_mul_f64 v[4:5], v[110:111], v[98:99]
	v_fma_f64 v[226:227], v[108:109], v[96:97], -v[4:5]
	v_mul_f64 v[4:5], v[108:109], v[98:99]
	v_fma_f64 v[230:231], v[110:111], v[96:97], v[4:5]
	s_waitcnt lgkmcnt(11)
	v_mul_f64 v[4:5], v[114:115], v[94:95]
	v_fma_f64 v[238:239], v[112:113], v[92:93], -v[4:5]
	v_mul_f64 v[4:5], v[112:113], v[94:95]
	v_fma_f64 v[234:235], v[114:115], v[92:93], v[4:5]
	s_waitcnt lgkmcnt(10)
	v_mul_f64 v[4:5], v[118:119], v[86:87]
	v_fma_f64 v[240:241], v[116:117], v[84:85], -v[4:5]
	v_mul_f64 v[4:5], v[116:117], v[86:87]
	v_fma_f64 v[236:237], v[118:119], v[84:85], v[4:5]
	v_lshlrev_b64 v[4:5], 6, v[122:123]
	v_add_co_u32_e64 v8, s[2:3], s12, v4
	v_addc_co_u32_e64 v9, s[2:3], v41, v5, s[2:3]
	v_add_co_u32_e64 v4, s[2:3], s4, v8
	v_addc_co_u32_e64 v5, s[2:3], 0, v9, s[2:3]
	;; [unrolled: 2-line block ×3, first 2 shown]
	global_load_dwordx4 v[104:107], v[8:9], off offset:2944
	global_load_dwordx4 v[108:111], v[4:5], off offset:48
	;; [unrolled: 1-line block ×4, first 2 shown]
	s_waitcnt vmcnt(3) lgkmcnt(8)
	v_mul_f64 v[4:5], v[126:127], v[106:107]
	v_fma_f64 v[18:19], v[124:125], v[104:105], -v[4:5]
	v_mul_f64 v[4:5], v[124:125], v[106:107]
	v_fma_f64 v[250:251], v[126:127], v[104:105], v[4:5]
	s_waitcnt vmcnt(0) lgkmcnt(7)
	v_mul_f64 v[4:5], v[130:131], v[118:119]
	v_fma_f64 v[242:243], v[128:129], v[116:117], -v[4:5]
	v_mul_f64 v[4:5], v[128:129], v[118:119]
	v_fma_f64 v[254:255], v[130:131], v[116:117], v[4:5]
	s_waitcnt lgkmcnt(6)
	v_mul_f64 v[4:5], v[134:135], v[114:115]
	v_fma_f64 v[246:247], v[132:133], v[112:113], -v[4:5]
	v_mul_f64 v[4:5], v[132:133], v[114:115]
	v_fma_f64 v[166:167], v[134:135], v[112:113], v[4:5]
	s_waitcnt lgkmcnt(5)
	v_mul_f64 v[4:5], v[39:40], v[110:111]
	v_fma_f64 v[20:21], v[37:38], v[108:109], -v[4:5]
	v_mul_f64 v[4:5], v[37:38], v[110:111]
	v_add_f64 v[37:38], v[204:205], -v[208:209]
	v_fma_f64 v[8:9], v[39:40], v[108:109], v[4:5]
	v_lshlrev_b64 v[4:5], 6, v[120:121]
	v_add_f64 v[39:40], v[232:233], -v[212:213]
	v_add_co_u32_e64 v10, s[2:3], s12, v4
	v_addc_co_u32_e64 v11, s[2:3], v41, v5, s[2:3]
	v_add_co_u32_e64 v4, s[2:3], s4, v10
	v_addc_co_u32_e64 v5, s[2:3], 0, v11, s[2:3]
	;; [unrolled: 2-line block ×3, first 2 shown]
	global_load_dwordx4 v[128:131], v[10:11], off offset:2944
	global_load_dwordx4 v[120:123], v[4:5], off offset:48
	;; [unrolled: 1-line block ×4, first 2 shown]
	s_mov_b32 s12, 0x134454ff
	s_mov_b32 s13, 0x3fee6f0e
	;; [unrolled: 1-line block ×6, first 2 shown]
	v_add_f64 v[37:38], v[37:38], v[39:40]
	s_mov_b32 s2, 0x372fe950
	s_mov_b32 s3, 0x3fd3c6ef
	v_add_f64 v[39:40], v[212:213], -v[232:233]
	v_add_f64 v[41:42], v[224:225], -v[228:229]
	s_waitcnt vmcnt(3) lgkmcnt(3)
	v_mul_f64 v[4:5], v[190:191], v[130:131]
	v_fma_f64 v[22:23], v[188:189], v[128:129], -v[4:5]
	v_mul_f64 v[4:5], v[188:189], v[130:131]
	v_fma_f64 v[10:11], v[190:191], v[128:129], v[4:5]
	s_waitcnt vmcnt(0) lgkmcnt(2)
	v_mul_f64 v[4:5], v[186:187], v[134:135]
	v_fma_f64 v[24:25], v[184:185], v[132:133], -v[4:5]
	v_mul_f64 v[4:5], v[184:185], v[134:135]
	v_fma_f64 v[12:13], v[186:187], v[132:133], v[4:5]
	s_waitcnt lgkmcnt(1)
	v_mul_f64 v[4:5], v[182:183], v[126:127]
	v_fma_f64 v[26:27], v[180:181], v[124:125], -v[4:5]
	v_mul_f64 v[4:5], v[180:181], v[126:127]
	v_fma_f64 v[14:15], v[182:183], v[124:125], v[4:5]
	s_waitcnt lgkmcnt(0)
	v_mul_f64 v[4:5], v[2:3], v[122:123]
	v_fma_f64 v[4:5], v[0:1], v[120:121], -v[4:5]
	v_mul_f64 v[0:1], v[0:1], v[122:123]
	v_fma_f64 v[16:17], v[2:3], v[120:121], v[0:1]
	v_add_f64 v[0:1], v[176:177], v[204:205]
	v_add_f64 v[2:3], v[194:195], -v[202:203]
	v_add_f64 v[0:1], v[0:1], v[208:209]
	v_add_f64 v[0:1], v[0:1], v[212:213]
	v_add_f64 v[180:181], v[0:1], v[232:233]
	v_add_f64 v[0:1], v[208:209], v[212:213]
	v_fma_f64 v[0:1], v[0:1], -0.5, v[176:177]
	v_fma_f64 v[33:34], v[2:3], s[12:13], v[0:1]
	v_fma_f64 v[0:1], v[2:3], s[14:15], v[0:1]
	;; [unrolled: 1-line block ×6, first 2 shown]
	v_add_f64 v[0:1], v[204:205], v[232:233]
	v_add_f64 v[37:38], v[208:209], -v[204:205]
	v_fma_f64 v[0:1], v[0:1], -0.5, v[176:177]
	v_add_f64 v[37:38], v[37:38], v[39:40]
	v_add_f64 v[39:40], v[202:203], -v[200:201]
	v_fma_f64 v[33:34], v[35:36], s[14:15], v[0:1]
	v_fma_f64 v[0:1], v[35:36], s[12:13], v[0:1]
	v_add_f64 v[35:36], v[208:209], -v[212:213]
	v_fma_f64 v[33:34], v[2:3], s[4:5], v[33:34]
	v_fma_f64 v[0:1], v[2:3], s[16:17], v[0:1]
	;; [unrolled: 3-line block ×3, first 2 shown]
	v_add_f64 v[0:1], v[178:179], v[194:195]
	v_add_f64 v[37:38], v[194:195], -v[198:199]
	v_add_f64 v[0:1], v[0:1], v[198:199]
	v_add_f64 v[37:38], v[37:38], v[39:40]
	v_add_f64 v[39:40], v[200:201], -v[202:203]
	v_add_f64 v[0:1], v[0:1], v[200:201]
	v_add_f64 v[182:183], v[0:1], v[202:203]
	v_add_f64 v[0:1], v[198:199], v[200:201]
	v_fma_f64 v[0:1], v[0:1], -0.5, v[178:179]
	v_fma_f64 v[33:34], v[2:3], s[14:15], v[0:1]
	v_fma_f64 v[0:1], v[2:3], s[12:13], v[0:1]
	;; [unrolled: 1-line block ×6, first 2 shown]
	v_add_f64 v[0:1], v[194:195], v[202:203]
	v_add_f64 v[37:38], v[198:199], -v[194:195]
	v_fma_f64 v[0:1], v[0:1], -0.5, v[178:179]
	v_add_f64 v[37:38], v[37:38], v[39:40]
	v_add_f64 v[39:40], v[228:229], -v[224:225]
	v_fma_f64 v[33:34], v[35:36], s[12:13], v[0:1]
	v_fma_f64 v[0:1], v[35:36], s[14:15], v[0:1]
	v_add_f64 v[35:36], v[214:215], -v[216:217]
	v_fma_f64 v[33:34], v[2:3], s[16:17], v[33:34]
	v_fma_f64 v[0:1], v[2:3], s[4:5], v[0:1]
	;; [unrolled: 3-line block ×3, first 2 shown]
	v_add_f64 v[0:1], v[172:173], v[206:207]
	v_add_f64 v[37:38], v[206:207], -v[220:221]
	v_add_f64 v[0:1], v[0:1], v[220:221]
	v_add_f64 v[37:38], v[37:38], v[39:40]
	v_add_f64 v[39:40], v[220:221], -v[206:207]
	v_add_f64 v[0:1], v[0:1], v[224:225]
	;; [unrolled: 3-line block ×3, first 2 shown]
	v_add_f64 v[0:1], v[220:221], v[224:225]
	v_fma_f64 v[0:1], v[0:1], -0.5, v[172:173]
	v_fma_f64 v[33:34], v[2:3], s[12:13], v[0:1]
	v_fma_f64 v[0:1], v[2:3], s[14:15], v[0:1]
	;; [unrolled: 1-line block ×5, first 2 shown]
	v_add_f64 v[33:34], v[206:207], v[228:229]
	v_fma_f64 v[0:1], v[37:38], s[2:3], v[0:1]
	v_fma_f64 v[33:34], v[33:34], -0.5, v[172:173]
	v_fma_f64 v[37:38], v[35:36], s[14:15], v[33:34]
	v_fma_f64 v[33:34], v[35:36], s[12:13], v[33:34]
	;; [unrolled: 1-line block ×4, first 2 shown]
	v_add_f64 v[33:34], v[206:207], -v[228:229]
	v_fma_f64 v[212:213], v[39:40], s[2:3], v[37:38]
	v_fma_f64 v[208:209], v[39:40], s[2:3], v[2:3]
	v_add_f64 v[2:3], v[174:175], v[210:211]
	v_add_f64 v[37:38], v[220:221], -v[224:225]
	v_add_f64 v[39:40], v[210:211], -v[214:215]
	v_add_f64 v[2:3], v[2:3], v[214:215]
	v_add_f64 v[39:40], v[39:40], v[41:42]
	v_add_f64 v[41:42], v[214:215], -v[210:211]
	v_add_f64 v[2:3], v[2:3], v[216:217]
	v_add_f64 v[41:42], v[41:42], v[43:44]
	;; [unrolled: 3-line block ×3, first 2 shown]
	v_fma_f64 v[2:3], v[2:3], -0.5, v[174:175]
	v_fma_f64 v[35:36], v[33:34], s[14:15], v[2:3]
	v_fma_f64 v[2:3], v[33:34], s[12:13], v[2:3]
	v_fma_f64 v[35:36], v[37:38], s[16:17], v[35:36]
	v_fma_f64 v[2:3], v[37:38], s[4:5], v[2:3]
	v_fma_f64 v[206:207], v[39:40], s[2:3], v[35:36]
	v_add_f64 v[35:36], v[210:211], v[218:219]
	v_fma_f64 v[2:3], v[39:40], s[2:3], v[2:3]
	v_fma_f64 v[35:36], v[35:36], -0.5, v[174:175]
	v_fma_f64 v[39:40], v[37:38], s[12:13], v[35:36]
	v_fma_f64 v[35:36], v[37:38], s[14:15], v[35:36]
	;; [unrolled: 1-line block ×4, first 2 shown]
	v_add_f64 v[35:36], v[6:7], -v[236:237]
	v_fma_f64 v[214:215], v[41:42], s[2:3], v[39:40]
	v_fma_f64 v[210:211], v[41:42], s[2:3], v[33:34]
	v_add_f64 v[33:34], v[156:157], v[222:223]
	v_add_f64 v[39:40], v[230:231], -v[234:235]
	v_add_f64 v[41:42], v[222:223], -v[226:227]
	v_add_f64 v[33:34], v[33:34], v[226:227]
	v_add_f64 v[41:42], v[41:42], v[43:44]
	v_add_f64 v[43:44], v[238:239], -v[240:241]
	v_add_f64 v[33:34], v[33:34], v[238:239]
	v_add_f64 v[216:217], v[33:34], v[240:241]
	;; [unrolled: 1-line block ×3, first 2 shown]
	v_fma_f64 v[33:34], v[33:34], -0.5, v[156:157]
	v_fma_f64 v[37:38], v[35:36], s[12:13], v[33:34]
	v_fma_f64 v[33:34], v[35:36], s[14:15], v[33:34]
	;; [unrolled: 1-line block ×6, first 2 shown]
	v_add_f64 v[33:34], v[222:223], v[240:241]
	v_add_f64 v[41:42], v[226:227], -v[222:223]
	v_fma_f64 v[33:34], v[33:34], -0.5, v[156:157]
	v_add_f64 v[41:42], v[41:42], v[43:44]
	v_add_f64 v[43:44], v[236:237], -v[234:235]
	v_fma_f64 v[37:38], v[39:40], s[14:15], v[33:34]
	v_fma_f64 v[33:34], v[39:40], s[12:13], v[33:34]
	v_add_f64 v[39:40], v[226:227], -v[238:239]
	v_fma_f64 v[37:38], v[35:36], s[4:5], v[37:38]
	v_fma_f64 v[33:34], v[35:36], s[16:17], v[33:34]
	;; [unrolled: 3-line block ×3, first 2 shown]
	v_add_f64 v[33:34], v[158:159], v[6:7]
	v_add_f64 v[41:42], v[6:7], -v[230:231]
	v_add_f64 v[33:34], v[33:34], v[230:231]
	v_add_f64 v[41:42], v[41:42], v[43:44]
	;; [unrolled: 1-line block ×5, first 2 shown]
	v_fma_f64 v[33:34], v[33:34], -0.5, v[158:159]
	v_fma_f64 v[37:38], v[35:36], s[14:15], v[33:34]
	v_fma_f64 v[33:34], v[35:36], s[12:13], v[33:34]
	;; [unrolled: 1-line block ×6, first 2 shown]
	v_add_f64 v[33:34], v[6:7], v[236:237]
	v_add_f64 v[6:7], v[230:231], -v[6:7]
	v_add_f64 v[41:42], v[234:235], -v[236:237]
	v_fma_f64 v[33:34], v[33:34], -0.5, v[158:159]
	v_add_f64 v[6:7], v[6:7], v[41:42]
	v_add_f64 v[41:42], v[20:21], -v[246:247]
	v_fma_f64 v[37:38], v[39:40], s[12:13], v[33:34]
	v_fma_f64 v[33:34], v[39:40], s[14:15], v[33:34]
	v_add_f64 v[39:40], v[18:19], -v[242:243]
	v_fma_f64 v[37:38], v[35:36], s[16:17], v[37:38]
	v_fma_f64 v[33:34], v[35:36], s[4:5], v[33:34]
	v_add_f64 v[39:40], v[39:40], v[41:42]
	v_add_f64 v[41:42], v[246:247], -v[20:21]
	v_fma_f64 v[234:235], v[6:7], s[2:3], v[37:38]
	v_fma_f64 v[230:231], v[6:7], s[2:3], v[33:34]
	v_add_f64 v[6:7], v[152:153], v[18:19]
	v_add_f64 v[33:34], v[250:251], -v[8:9]
	v_add_f64 v[37:38], v[254:255], -v[166:167]
	v_add_f64 v[6:7], v[6:7], v[242:243]
	v_add_f64 v[6:7], v[6:7], v[246:247]
	;; [unrolled: 1-line block ×4, first 2 shown]
	v_fma_f64 v[6:7], v[6:7], -0.5, v[152:153]
	v_fma_f64 v[35:36], v[33:34], s[12:13], v[6:7]
	v_fma_f64 v[6:7], v[33:34], s[14:15], v[6:7]
	;; [unrolled: 1-line block ×6, first 2 shown]
	v_add_f64 v[6:7], v[18:19], v[20:21]
	v_add_f64 v[39:40], v[242:243], -v[18:19]
	v_add_f64 v[18:19], v[18:19], -v[20:21]
	v_fma_f64 v[6:7], v[6:7], -0.5, v[152:153]
	v_add_f64 v[39:40], v[39:40], v[41:42]
	v_fma_f64 v[35:36], v[37:38], s[14:15], v[6:7]
	v_fma_f64 v[6:7], v[37:38], s[12:13], v[6:7]
	v_add_f64 v[37:38], v[8:9], -v[166:167]
	v_fma_f64 v[35:36], v[33:34], s[4:5], v[35:36]
	v_fma_f64 v[6:7], v[33:34], s[16:17], v[6:7]
	v_add_f64 v[33:34], v[242:243], -v[246:247]
	v_fma_f64 v[252:253], v[39:40], s[2:3], v[35:36]
	v_fma_f64 v[248:249], v[39:40], s[2:3], v[6:7]
	v_add_f64 v[6:7], v[154:155], v[250:251]
	v_add_f64 v[35:36], v[250:251], -v[254:255]
	v_add_f64 v[6:7], v[6:7], v[254:255]
	v_add_f64 v[35:36], v[35:36], v[37:38]
	;; [unrolled: 1-line block ×5, first 2 shown]
	v_fma_f64 v[6:7], v[6:7], -0.5, v[154:155]
	v_fma_f64 v[20:21], v[18:19], s[14:15], v[6:7]
	v_fma_f64 v[6:7], v[18:19], s[12:13], v[6:7]
	;; [unrolled: 1-line block ×6, first 2 shown]
	v_add_f64 v[6:7], v[250:251], v[8:9]
	v_add_f64 v[35:36], v[254:255], -v[250:251]
	v_add_f64 v[8:9], v[166:167], -v[8:9]
	v_fma_f64 v[6:7], v[6:7], -0.5, v[154:155]
	v_add_f64 v[8:9], v[35:36], v[8:9]
	v_add_f64 v[35:36], v[4:5], -v[26:27]
	v_fma_f64 v[20:21], v[33:34], s[12:13], v[6:7]
	v_fma_f64 v[6:7], v[33:34], s[14:15], v[6:7]
	v_add_f64 v[33:34], v[22:23], -v[24:25]
	v_fma_f64 v[20:21], v[18:19], s[16:17], v[20:21]
	v_fma_f64 v[6:7], v[18:19], s[4:5], v[6:7]
	v_add_f64 v[33:34], v[33:34], v[35:36]
	v_add_f64 v[35:36], v[26:27], -v[4:5]
	v_fma_f64 v[254:255], v[8:9], s[2:3], v[20:21]
	v_fma_f64 v[250:251], v[8:9], s[2:3], v[6:7]
	v_add_f64 v[6:7], v[160:161], v[22:23]
	v_add_f64 v[8:9], v[10:11], -v[16:17]
	v_add_f64 v[20:21], v[12:13], -v[14:15]
	v_add_f64 v[6:7], v[6:7], v[24:25]
	v_add_f64 v[6:7], v[6:7], v[26:27]
	;; [unrolled: 1-line block ×4, first 2 shown]
	v_fma_f64 v[6:7], v[6:7], -0.5, v[160:161]
	v_fma_f64 v[18:19], v[8:9], s[12:13], v[6:7]
	v_fma_f64 v[6:7], v[8:9], s[14:15], v[6:7]
	;; [unrolled: 1-line block ×6, first 2 shown]
	v_add_f64 v[6:7], v[22:23], v[4:5]
	v_add_f64 v[33:34], v[24:25], -v[22:23]
	v_add_f64 v[4:5], v[22:23], -v[4:5]
	;; [unrolled: 1-line block ×3, first 2 shown]
	v_fma_f64 v[6:7], v[6:7], -0.5, v[160:161]
	v_add_f64 v[33:34], v[33:34], v[35:36]
	v_fma_f64 v[18:19], v[20:21], s[14:15], v[6:7]
	v_fma_f64 v[6:7], v[20:21], s[12:13], v[6:7]
	v_add_f64 v[20:21], v[10:11], -v[12:13]
	v_fma_f64 v[18:19], v[8:9], s[4:5], v[18:19]
	v_fma_f64 v[6:7], v[8:9], s[16:17], v[6:7]
	v_add_f64 v[20:21], v[20:21], v[22:23]
	v_fma_f64 v[160:161], v[33:34], s[2:3], v[18:19]
	v_fma_f64 v[176:177], v[33:34], s[2:3], v[6:7]
	v_add_f64 v[6:7], v[162:163], v[10:11]
	v_add_f64 v[18:19], v[24:25], -v[26:27]
	v_add_f64 v[6:7], v[6:7], v[12:13]
	v_add_f64 v[6:7], v[6:7], v[14:15]
	;; [unrolled: 1-line block ×4, first 2 shown]
	v_fma_f64 v[6:7], v[6:7], -0.5, v[162:163]
	v_fma_f64 v[8:9], v[4:5], s[14:15], v[6:7]
	v_fma_f64 v[6:7], v[4:5], s[12:13], v[6:7]
	;; [unrolled: 1-line block ×6, first 2 shown]
	v_add_f64 v[6:7], v[10:11], v[16:17]
	v_add_f64 v[10:11], v[12:13], -v[10:11]
	v_add_f64 v[12:13], v[14:15], -v[16:17]
	v_fma_f64 v[6:7], v[6:7], -0.5, v[162:163]
	v_add_f64 v[10:11], v[10:11], v[12:13]
	v_fma_f64 v[8:9], v[18:19], s[12:13], v[6:7]
	v_fma_f64 v[6:7], v[18:19], s[14:15], v[6:7]
	s_mov_b32 s12, 0x8000
	v_fma_f64 v[8:9], v[4:5], s[16:17], v[8:9]
	v_fma_f64 v[4:5], v[4:5], s[4:5], v[6:7]
	;; [unrolled: 1-line block ×4, first 2 shown]
	ds_write_b128 v164, v[180:183]
	ds_write_b128 v164, v[188:191] offset:7200
	ds_write_b128 v164, v[196:199] offset:14400
	;; [unrolled: 1-line block ×24, first 2 shown]
	s_waitcnt lgkmcnt(0)
	s_barrier
	ds_read_b128 v[2:5], v164
	buffer_load_dword v33, off, s[24:27], 0 ; 4-byte Folded Reload
	buffer_load_dword v34, off, s[24:27], 0 offset:4 ; 4-byte Folded Reload
	s_mov_b32 s2, 0x8ca0
	s_waitcnt vmcnt(1)
	v_add_co_u32_e64 v0, s[2:3], s2, v33
	v_addc_co_u32_e64 v1, s[2:3], 0, v32, s[2:3]
	v_add_co_u32_e64 v6, s[2:3], s12, v33
	v_addc_co_u32_e64 v7, s[2:3], 0, v32, s[2:3]
	global_load_dwordx4 v[6:9], v[6:7], off offset:3232
	s_mov_b32 s2, 0xa000
	v_add_co_u32_e64 v14, s[2:3], s2, v33
	v_addc_co_u32_e64 v15, s[2:3], 0, v32, s[2:3]
	s_mov_b32 s2, 0xb000
	v_add_co_u32_e64 v16, s[2:3], s2, v33
	v_addc_co_u32_e64 v17, s[2:3], 0, v32, s[2:3]
	;; [unrolled: 3-line block ×7, first 2 shown]
	s_mov_b32 s2, 0x11000
	s_waitcnt vmcnt(0) lgkmcnt(0)
	v_mul_f64 v[10:11], v[4:5], v[8:9]
	v_fma_f64 v[10:11], v[2:3], v[6:7], -v[10:11]
	v_mul_f64 v[2:3], v[2:3], v[8:9]
	v_fma_f64 v[12:13], v[4:5], v[6:7], v[2:3]
	global_load_dwordx4 v[6:9], v[0:1], off offset:3600
	ds_read_b128 v[2:5], v164 offset:3600
	ds_write_b128 v164, v[10:13]
	s_waitcnt vmcnt(0) lgkmcnt(1)
	v_mul_f64 v[10:11], v[4:5], v[8:9]
	v_fma_f64 v[10:11], v[2:3], v[6:7], -v[10:11]
	v_mul_f64 v[2:3], v[2:3], v[8:9]
	v_fma_f64 v[12:13], v[4:5], v[6:7], v[2:3]
	global_load_dwordx4 v[6:9], v[14:15], off offset:2240
	ds_read_b128 v[2:5], v164 offset:7200
	ds_write_b128 v164, v[10:13] offset:3600
	s_waitcnt vmcnt(0) lgkmcnt(1)
	v_mul_f64 v[10:11], v[4:5], v[8:9]
	v_fma_f64 v[10:11], v[2:3], v[6:7], -v[10:11]
	v_mul_f64 v[2:3], v[2:3], v[8:9]
	v_fma_f64 v[12:13], v[4:5], v[6:7], v[2:3]
	global_load_dwordx4 v[6:9], v[16:17], off offset:1744
	ds_read_b128 v[2:5], v164 offset:10800
	ds_write_b128 v164, v[10:13] offset:7200
	;; [unrolled: 8-line block ×17, first 2 shown]
	s_waitcnt vmcnt(0) lgkmcnt(1)
	v_mul_f64 v[10:11], v[4:5], v[8:9]
	v_fma_f64 v[10:11], v[2:3], v[6:7], -v[10:11]
	v_mul_f64 v[2:3], v[2:3], v[8:9]
	v_fma_f64 v[12:13], v[4:5], v[6:7], v[2:3]
	v_add_co_u32_e64 v6, s[2:3], s2, v33
	v_addc_co_u32_e64 v7, s[2:3], 0, v32, s[2:3]
	global_load_dwordx4 v[6:9], v[6:7], off offset:208
	ds_read_b128 v[2:5], v164 offset:33840
	ds_write_b128 v164, v[10:13] offset:30240
	s_waitcnt vmcnt(0) lgkmcnt(1)
	v_mul_f64 v[10:11], v[4:5], v[8:9]
	v_fma_f64 v[10:11], v[2:3], v[6:7], -v[10:11]
	v_mul_f64 v[2:3], v[2:3], v[8:9]
	v_fma_f64 v[12:13], v[4:5], v[6:7], v[2:3]
	ds_write_b128 v164, v[10:13] offset:33840
	s_and_saveexec_b64 s[4:5], vcc
	s_cbranch_execz .LBB0_17
; %bb.16:
	global_load_dwordx4 v[6:9], v[0:1], off offset:2880
	ds_read_b128 v[2:5], v164 offset:2880
	s_waitcnt vmcnt(0) lgkmcnt(0)
	v_mul_f64 v[10:11], v[4:5], v[8:9]
	v_fma_f64 v[10:11], v[2:3], v[6:7], -v[10:11]
	v_mul_f64 v[2:3], v[2:3], v[8:9]
	v_fma_f64 v[12:13], v[4:5], v[6:7], v[2:3]
	v_add_co_u32_e64 v6, s[2:3], s18, v0
	v_addc_co_u32_e64 v7, s[2:3], 0, v1, s[2:3]
	global_load_dwordx4 v[6:9], v[6:7], off offset:2384
	ds_read_b128 v[2:5], v164 offset:6480
	s_movk_i32 s2, 0x2000
	ds_write_b128 v164, v[10:13] offset:2880
	s_waitcnt vmcnt(0) lgkmcnt(1)
	v_mul_f64 v[10:11], v[4:5], v[8:9]
	v_fma_f64 v[10:11], v[2:3], v[6:7], -v[10:11]
	v_mul_f64 v[2:3], v[2:3], v[8:9]
	v_fma_f64 v[12:13], v[4:5], v[6:7], v[2:3]
	v_add_co_u32_e64 v6, s[2:3], s2, v0
	v_addc_co_u32_e64 v7, s[2:3], 0, v1, s[2:3]
	global_load_dwordx4 v[6:9], v[6:7], off offset:1888
	ds_read_b128 v[2:5], v164 offset:10080
	s_movk_i32 s2, 0x3000
	ds_write_b128 v164, v[10:13] offset:6480
	;; [unrolled: 11-line block ×4, first 2 shown]
	v_add_co_u32_e64 v14, s[2:3], s2, v0
	v_addc_co_u32_e64 v15, s[2:3], 0, v1, s[2:3]
	s_movk_i32 s2, 0x6000
	s_waitcnt vmcnt(0) lgkmcnt(1)
	v_mul_f64 v[10:11], v[4:5], v[8:9]
	v_fma_f64 v[10:11], v[2:3], v[6:7], -v[10:11]
	v_mul_f64 v[2:3], v[2:3], v[8:9]
	v_fma_f64 v[12:13], v[4:5], v[6:7], v[2:3]
	global_load_dwordx4 v[6:9], v[14:15], off offset:400
	ds_read_b128 v[2:5], v164 offset:20880
	ds_write_b128 v164, v[10:13] offset:17280
	s_waitcnt vmcnt(0) lgkmcnt(1)
	v_mul_f64 v[10:11], v[4:5], v[8:9]
	v_fma_f64 v[10:11], v[2:3], v[6:7], -v[10:11]
	v_mul_f64 v[2:3], v[2:3], v[8:9]
	v_fma_f64 v[12:13], v[4:5], v[6:7], v[2:3]
	global_load_dwordx4 v[6:9], v[14:15], off offset:4000
	ds_read_b128 v[2:5], v164 offset:24480
	ds_write_b128 v164, v[10:13] offset:20880
	s_waitcnt vmcnt(0) lgkmcnt(1)
	v_mul_f64 v[10:11], v[4:5], v[8:9]
	v_fma_f64 v[10:11], v[2:3], v[6:7], -v[10:11]
	v_mul_f64 v[2:3], v[2:3], v[8:9]
	v_fma_f64 v[12:13], v[4:5], v[6:7], v[2:3]
	v_add_co_u32_e64 v6, s[2:3], s2, v0
	v_addc_co_u32_e64 v7, s[2:3], 0, v1, s[2:3]
	global_load_dwordx4 v[6:9], v[6:7], off offset:3504
	ds_read_b128 v[2:5], v164 offset:28080
	s_movk_i32 s2, 0x7000
	ds_write_b128 v164, v[10:13] offset:24480
	s_waitcnt vmcnt(0) lgkmcnt(1)
	v_mul_f64 v[10:11], v[4:5], v[8:9]
	v_fma_f64 v[10:11], v[2:3], v[6:7], -v[10:11]
	v_mul_f64 v[2:3], v[2:3], v[8:9]
	v_fma_f64 v[12:13], v[4:5], v[6:7], v[2:3]
	v_add_co_u32_e64 v6, s[2:3], s2, v0
	v_addc_co_u32_e64 v7, s[2:3], 0, v1, s[2:3]
	global_load_dwordx4 v[6:9], v[6:7], off offset:3008
	ds_read_b128 v[2:5], v164 offset:31680
	v_add_co_u32_e64 v0, s[2:3], s12, v0
	ds_write_b128 v164, v[10:13] offset:28080
	v_addc_co_u32_e64 v1, s[2:3], 0, v1, s[2:3]
	s_waitcnt vmcnt(0) lgkmcnt(1)
	v_mul_f64 v[10:11], v[4:5], v[8:9]
	v_fma_f64 v[10:11], v[2:3], v[6:7], -v[10:11]
	v_mul_f64 v[2:3], v[2:3], v[8:9]
	v_fma_f64 v[12:13], v[4:5], v[6:7], v[2:3]
	global_load_dwordx4 v[6:9], v[0:1], off offset:2512
	ds_read_b128 v[2:5], v164 offset:35280
	ds_write_b128 v164, v[10:13] offset:31680
	s_waitcnt vmcnt(0) lgkmcnt(1)
	v_mul_f64 v[0:1], v[4:5], v[8:9]
	v_fma_f64 v[0:1], v[2:3], v[6:7], -v[0:1]
	v_mul_f64 v[2:3], v[2:3], v[8:9]
	v_fma_f64 v[2:3], v[4:5], v[6:7], v[2:3]
	ds_write_b128 v164, v[0:3] offset:35280
.LBB0_17:
	s_or_b64 exec, exec, s[4:5]
	s_waitcnt lgkmcnt(0)
	s_barrier
	ds_read_b128 v[224:227], v164 offset:3600
	ds_read_b128 v[200:203], v164 offset:1440
	;; [unrolled: 1-line block ×18, first 2 shown]
	ds_read_b128 v[252:255], v164
	ds_read_b128 v[192:195], v164 offset:33840
	s_and_saveexec_b64 s[2:3], vcc
	s_cbranch_execz .LBB0_19
; %bb.18:
	ds_read_b128 v[172:175], v164 offset:6480
	ds_read_b128 v[160:163], v164 offset:10080
	;; [unrolled: 1-line block ×10, first 2 shown]
.LBB0_19:
	s_or_b64 exec, exec, s[2:3]
	s_waitcnt lgkmcnt(9)
	v_add_f64 v[6:7], v[240:241], v[244:245]
	s_waitcnt lgkmcnt(5)
	v_add_f64 v[12:13], v[238:239], -v[250:251]
	s_mov_b32 s2, 0x134454ff
	s_mov_b32 s3, 0xbfee6f0e
	;; [unrolled: 1-line block ×4, first 2 shown]
	v_add_f64 v[14:15], v[242:243], -v[246:247]
	v_add_f64 v[10:11], v[236:237], -v[240:241]
	s_waitcnt lgkmcnt(1)
	v_fma_f64 v[8:9], v[6:7], -0.5, v[252:253]
	v_add_f64 v[16:17], v[248:249], -v[244:245]
	s_mov_b32 s12, 0x4755a5e
	s_mov_b32 s13, 0xbfe2cf23
	;; [unrolled: 1-line block ×6, first 2 shown]
	v_fma_f64 v[6:7], v[12:13], s[2:3], v[8:9]
	v_fma_f64 v[8:9], v[12:13], s[14:15], v[8:9]
	v_add_f64 v[10:11], v[10:11], v[16:17]
	v_add_f64 v[18:19], v[240:241], -v[236:237]
	v_add_f64 v[20:21], v[244:245], -v[248:249]
	;; [unrolled: 1-line block ×5, first 2 shown]
	v_fma_f64 v[6:7], v[14:15], s[12:13], v[6:7]
	v_fma_f64 v[8:9], v[14:15], s[16:17], v[8:9]
	v_add_f64 v[32:33], v[242:243], -v[238:239]
	v_add_f64 v[34:35], v[246:247], -v[250:251]
	v_add_f64 v[18:19], v[18:19], v[20:21]
	v_add_f64 v[36:37], v[222:223], -v[230:231]
	v_add_f64 v[38:39], v[0:1], -v[220:221]
	v_add_f64 v[24:25], v[24:25], v[26:27]
	v_fma_f64 v[6:7], v[10:11], s[4:5], v[6:7]
	v_fma_f64 v[8:9], v[10:11], s[4:5], v[8:9]
	v_add_f64 v[10:11], v[236:237], v[248:249]
	v_add_f64 v[32:33], v[32:33], v[34:35]
	v_add_f64 v[40:41], v[232:233], -v[228:229]
	v_add_f64 v[42:43], v[220:221], -v[0:1]
	;; [unrolled: 1-line block ×6, first 2 shown]
	v_fma_f64 v[16:17], v[10:11], -0.5, v[252:253]
	v_add_f64 v[4:5], v[252:253], v[236:237]
	v_add_f64 v[38:39], v[38:39], v[40:41]
	s_mov_b32 s20, 0x9b97f4a8
	v_add_f64 v[42:43], v[42:43], v[44:45]
	v_add_f64 v[44:45], v[220:221], -v[228:229]
	v_add_f64 v[46:47], v[46:47], v[48:49]
	s_mov_b32 s21, 0x3fe9e377
	v_fma_f64 v[10:11], v[14:15], s[14:15], v[16:17]
	v_fma_f64 v[14:15], v[14:15], s[2:3], v[16:17]
	v_add_f64 v[16:17], v[242:243], v[246:247]
	s_mov_b32 s19, 0xbfd3c6ef
	s_mov_b32 s18, s4
	v_add_f64 v[4:5], v[4:5], v[240:241]
	s_mov_b32 s23, 0xbfe9e377
	s_mov_b32 s22, s20
	v_fma_f64 v[10:11], v[12:13], s[12:13], v[10:11]
	v_fma_f64 v[12:13], v[12:13], s[16:17], v[14:15]
	v_fma_f64 v[16:17], v[16:17], -0.5, v[254:255]
	v_add_f64 v[14:15], v[254:255], v[238:239]
	v_add_f64 v[52:53], v[186:187], -v[182:183]
	v_add_f64 v[4:5], v[4:5], v[244:245]
	s_waitcnt lgkmcnt(0)
	v_add_f64 v[54:55], v[190:191], -v[194:195]
	v_add_f64 v[166:167], v[178:179], -v[146:147]
	v_fma_f64 v[10:11], v[18:19], s[4:5], v[10:11]
	v_fma_f64 v[12:13], v[18:19], s[4:5], v[12:13]
	v_add_f64 v[18:19], v[236:237], -v[248:249]
	v_add_f64 v[14:15], v[14:15], v[242:243]
	v_add_f64 v[4:5], v[4:5], v[248:249]
	;; [unrolled: 1-line block ×3, first 2 shown]
	s_barrier
	v_fma_f64 v[20:21], v[18:19], s[14:15], v[16:17]
	v_fma_f64 v[16:17], v[18:19], s[2:3], v[16:17]
	v_add_f64 v[14:15], v[14:15], v[246:247]
	v_fma_f64 v[20:21], v[22:23], s[16:17], v[20:21]
	v_fma_f64 v[16:17], v[22:23], s[12:13], v[16:17]
	v_add_f64 v[14:15], v[14:15], v[250:251]
	;; [unrolled: 3-line block ×3, first 2 shown]
	v_fma_f64 v[24:25], v[24:25], -0.5, v[254:255]
	v_fma_f64 v[26:27], v[22:23], s[2:3], v[24:25]
	v_fma_f64 v[22:23], v[22:23], s[14:15], v[24:25]
	v_add_f64 v[24:25], v[220:221], v[228:229]
	v_fma_f64 v[26:27], v[18:19], s[16:17], v[26:27]
	v_fma_f64 v[18:19], v[18:19], s[12:13], v[22:23]
	v_fma_f64 v[24:25], v[24:25], -0.5, v[224:225]
	v_add_f64 v[22:23], v[224:225], v[0:1]
	v_fma_f64 v[26:27], v[32:33], s[4:5], v[26:27]
	v_fma_f64 v[18:19], v[32:33], s[4:5], v[18:19]
	v_add_f64 v[32:33], v[2:3], -v[234:235]
	v_add_f64 v[22:23], v[22:23], v[220:221]
	v_fma_f64 v[34:35], v[32:33], s[2:3], v[24:25]
	v_fma_f64 v[24:25], v[32:33], s[14:15], v[24:25]
	v_add_f64 v[22:23], v[22:23], v[228:229]
	v_fma_f64 v[34:35], v[36:37], s[12:13], v[34:35]
	v_fma_f64 v[24:25], v[36:37], s[16:17], v[24:25]
	;; [unrolled: 3-line block ×3, first 2 shown]
	v_add_f64 v[38:39], v[0:1], v[232:233]
	v_add_f64 v[0:1], v[0:1], -v[232:233]
	v_add_f64 v[220:221], v[4:5], v[22:23]
	v_fma_f64 v[38:39], v[38:39], -0.5, v[224:225]
	v_fma_f64 v[40:41], v[36:37], s[14:15], v[38:39]
	v_fma_f64 v[36:37], v[36:37], s[2:3], v[38:39]
	v_add_f64 v[38:39], v[222:223], v[230:231]
	v_fma_f64 v[40:41], v[32:33], s[12:13], v[40:41]
	v_fma_f64 v[32:33], v[32:33], s[16:17], v[36:37]
	v_fma_f64 v[38:39], v[38:39], -0.5, v[226:227]
	v_add_f64 v[36:37], v[226:227], v[2:3]
	v_fma_f64 v[40:41], v[42:43], s[4:5], v[40:41]
	v_fma_f64 v[32:33], v[42:43], s[4:5], v[32:33]
	;; [unrolled: 1-line block ×4, first 2 shown]
	v_add_f64 v[36:37], v[36:37], v[222:223]
	v_fma_f64 v[42:43], v[44:45], s[16:17], v[42:43]
	v_fma_f64 v[38:39], v[44:45], s[12:13], v[38:39]
	v_add_f64 v[36:37], v[36:37], v[230:231]
	v_fma_f64 v[42:43], v[46:47], s[4:5], v[42:43]
	v_fma_f64 v[38:39], v[46:47], s[4:5], v[38:39]
	v_add_f64 v[46:47], v[2:3], v[234:235]
	v_add_f64 v[2:3], v[222:223], -v[2:3]
	v_add_f64 v[36:37], v[36:37], v[234:235]
	v_fma_f64 v[46:47], v[46:47], -0.5, v[226:227]
	v_add_f64 v[2:3], v[2:3], v[50:51]
	v_mul_f64 v[50:51], v[38:39], s[12:13]
	v_add_f64 v[222:223], v[14:15], v[36:37]
	v_fma_f64 v[48:49], v[44:45], s[2:3], v[46:47]
	v_fma_f64 v[44:45], v[44:45], s[14:15], v[46:47]
	;; [unrolled: 1-line block ×5, first 2 shown]
	v_add_f64 v[236:237], v[8:9], v[50:51]
	v_add_f64 v[240:241], v[8:9], -v[50:51]
	v_add_f64 v[50:51], v[194:195], -v[190:191]
	v_fma_f64 v[48:49], v[2:3], s[4:5], v[48:49]
	v_fma_f64 v[0:1], v[2:3], s[4:5], v[0:1]
	v_mul_f64 v[2:3], v[42:43], s[12:13]
	v_mul_f64 v[44:45], v[48:49], s[2:3]
	;; [unrolled: 1-line block ×3, first 2 shown]
	v_fma_f64 v[2:3], v[34:35], s[20:21], v[2:3]
	v_mul_f64 v[0:1], v[0:1], s[18:19]
	v_mul_f64 v[34:35], v[34:35], s[16:17]
	v_fma_f64 v[44:45], v[40:41], s[4:5], v[44:45]
	v_fma_f64 v[46:47], v[32:33], s[18:19], v[46:47]
	v_add_f64 v[224:225], v[6:7], v[2:3]
	v_fma_f64 v[32:33], v[32:33], s[14:15], v[0:1]
	v_mul_f64 v[0:1], v[38:39], s[22:23]
	v_add_f64 v[252:253], v[6:7], -v[2:3]
	v_add_f64 v[6:7], v[208:209], v[212:213]
	v_add_f64 v[2:3], v[14:15], -v[36:37]
	v_add_f64 v[228:229], v[10:11], v[44:45]
	v_add_f64 v[248:249], v[10:11], -v[44:45]
	v_add_f64 v[10:11], v[206:207], -v[218:219]
	v_add_f64 v[232:233], v[12:13], v[46:47]
	v_fma_f64 v[24:25], v[24:25], s[16:17], v[0:1]
	v_add_f64 v[244:245], v[12:13], -v[46:47]
	v_fma_f64 v[8:9], v[6:7], -0.5, v[200:201]
	v_add_f64 v[12:13], v[210:211], -v[214:215]
	v_add_f64 v[14:15], v[204:205], -v[208:209]
	v_fma_f64 v[34:35], v[42:43], s[20:21], v[34:35]
	v_add_f64 v[234:235], v[18:19], v[32:33]
	v_add_f64 v[246:247], v[18:19], -v[32:33]
	v_add_f64 v[238:239], v[16:17], v[24:25]
	v_add_f64 v[242:243], v[16:17], -v[24:25]
	v_fma_f64 v[6:7], v[10:11], s[2:3], v[8:9]
	v_add_f64 v[16:17], v[216:217], -v[212:213]
	v_fma_f64 v[8:9], v[10:11], s[14:15], v[8:9]
	v_add_f64 v[226:227], v[20:21], v[34:35]
	v_add_f64 v[254:255], v[20:21], -v[34:35]
	v_add_f64 v[18:19], v[208:209], -v[204:205]
	;; [unrolled: 1-line block ×3, first 2 shown]
	v_mul_f64 v[42:43], v[48:49], s[4:5]
	v_fma_f64 v[6:7], v[12:13], s[12:13], v[6:7]
	v_add_f64 v[14:15], v[14:15], v[16:17]
	v_fma_f64 v[8:9], v[12:13], s[16:17], v[8:9]
	v_add_f64 v[0:1], v[4:5], -v[22:23]
	v_add_f64 v[22:23], v[208:209], -v[212:213]
	;; [unrolled: 1-line block ×3, first 2 shown]
	v_add_f64 v[18:19], v[18:19], v[20:21]
	v_fma_f64 v[40:41], v[40:41], s[14:15], v[42:43]
	v_add_f64 v[32:33], v[210:211], -v[206:207]
	v_fma_f64 v[6:7], v[14:15], s[4:5], v[6:7]
	v_fma_f64 v[8:9], v[14:15], s[4:5], v[8:9]
	v_add_f64 v[14:15], v[204:205], v[216:217]
	v_add_f64 v[34:35], v[214:215], -v[218:219]
	v_add_f64 v[36:37], v[186:187], -v[190:191]
	;; [unrolled: 1-line block ×3, first 2 shown]
	v_add_f64 v[230:231], v[26:27], v[40:41]
	v_add_f64 v[250:251], v[26:27], -v[40:41]
	v_add_f64 v[26:27], v[218:219], -v[214:215]
	;; [unrolled: 1-line block ×3, first 2 shown]
	v_fma_f64 v[14:15], v[14:15], -0.5, v[200:201]
	v_add_f64 v[32:33], v[32:33], v[34:35]
	v_add_f64 v[42:43], v[184:185], -v[180:181]
	v_add_f64 v[44:45], v[188:189], -v[192:193]
	;; [unrolled: 1-line block ×4, first 2 shown]
	v_add_f64 v[24:25], v[24:25], v[26:27]
	v_add_f64 v[38:39], v[38:39], v[40:41]
	v_fma_f64 v[16:17], v[12:13], s[14:15], v[14:15]
	v_fma_f64 v[12:13], v[12:13], s[2:3], v[14:15]
	v_add_f64 v[14:15], v[210:211], v[214:215]
	v_add_f64 v[42:43], v[42:43], v[44:45]
	;; [unrolled: 1-line block ×4, first 2 shown]
	v_fma_f64 v[16:17], v[10:11], s[12:13], v[16:17]
	v_fma_f64 v[10:11], v[10:11], s[16:17], v[12:13]
	v_fma_f64 v[14:15], v[14:15], -0.5, v[202:203]
	v_add_f64 v[12:13], v[202:203], v[206:207]
	v_add_f64 v[4:5], v[4:5], v[208:209]
	v_fma_f64 v[16:17], v[18:19], s[4:5], v[16:17]
	v_fma_f64 v[10:11], v[18:19], s[4:5], v[10:11]
	v_add_f64 v[18:19], v[204:205], -v[216:217]
	v_add_f64 v[12:13], v[12:13], v[210:211]
	v_add_f64 v[4:5], v[4:5], v[212:213]
	v_add_f64 v[212:213], v[178:179], -v[142:143]
	v_fma_f64 v[20:21], v[18:19], s[14:15], v[14:15]
	v_fma_f64 v[14:15], v[18:19], s[2:3], v[14:15]
	v_add_f64 v[12:13], v[12:13], v[214:215]
	v_add_f64 v[4:5], v[4:5], v[216:217]
	v_add_f64 v[214:215], v[146:147], -v[150:151]
	v_fma_f64 v[20:21], v[22:23], s[16:17], v[20:21]
	v_fma_f64 v[14:15], v[22:23], s[12:13], v[14:15]
	v_add_f64 v[12:13], v[12:13], v[218:219]
	v_fma_f64 v[20:21], v[24:25], s[4:5], v[20:21]
	v_fma_f64 v[14:15], v[24:25], s[4:5], v[14:15]
	v_add_f64 v[24:25], v[206:207], v[218:219]
	v_add_f64 v[218:219], v[176:177], -v[140:141]
	v_fma_f64 v[24:25], v[24:25], -0.5, v[202:203]
	v_fma_f64 v[26:27], v[22:23], s[2:3], v[24:25]
	v_fma_f64 v[22:23], v[22:23], s[14:15], v[24:25]
	v_add_f64 v[24:25], v[184:185], v[188:189]
	v_fma_f64 v[26:27], v[18:19], s[16:17], v[26:27]
	v_fma_f64 v[18:19], v[18:19], s[12:13], v[22:23]
	v_fma_f64 v[24:25], v[24:25], -0.5, v[196:197]
	v_add_f64 v[22:23], v[196:197], v[180:181]
	v_fma_f64 v[26:27], v[32:33], s[4:5], v[26:27]
	v_fma_f64 v[18:19], v[32:33], s[4:5], v[18:19]
	v_add_f64 v[32:33], v[182:183], -v[194:195]
	v_add_f64 v[22:23], v[22:23], v[184:185]
	v_fma_f64 v[34:35], v[32:33], s[2:3], v[24:25]
	v_fma_f64 v[24:25], v[32:33], s[14:15], v[24:25]
	v_add_f64 v[22:23], v[22:23], v[188:189]
	v_fma_f64 v[34:35], v[36:37], s[12:13], v[34:35]
	v_fma_f64 v[24:25], v[36:37], s[16:17], v[24:25]
	v_add_f64 v[22:23], v[22:23], v[192:193]
	v_fma_f64 v[34:35], v[38:39], s[4:5], v[34:35]
	v_fma_f64 v[24:25], v[38:39], s[4:5], v[24:25]
	v_add_f64 v[38:39], v[180:181], v[192:193]
	v_fma_f64 v[38:39], v[38:39], -0.5, v[196:197]
	v_fma_f64 v[40:41], v[36:37], s[14:15], v[38:39]
	v_fma_f64 v[36:37], v[36:37], s[2:3], v[38:39]
	v_add_f64 v[38:39], v[186:187], v[190:191]
	v_fma_f64 v[40:41], v[32:33], s[12:13], v[40:41]
	v_fma_f64 v[32:33], v[32:33], s[16:17], v[36:37]
	v_fma_f64 v[38:39], v[38:39], -0.5, v[198:199]
	v_add_f64 v[36:37], v[198:199], v[182:183]
	v_fma_f64 v[40:41], v[42:43], s[4:5], v[40:41]
	v_fma_f64 v[32:33], v[42:43], s[4:5], v[32:33]
	v_add_f64 v[42:43], v[180:181], -v[192:193]
	v_add_f64 v[36:37], v[36:37], v[186:187]
	v_add_f64 v[192:193], v[4:5], v[22:23]
	v_add_f64 v[180:181], v[142:143], -v[150:151]
	v_fma_f64 v[44:45], v[42:43], s[14:15], v[38:39]
	v_fma_f64 v[38:39], v[42:43], s[2:3], v[38:39]
	v_add_f64 v[36:37], v[36:37], v[190:191]
	v_add_f64 v[166:167], v[166:167], v[180:181]
	v_fma_f64 v[44:45], v[46:47], s[16:17], v[44:45]
	v_fma_f64 v[38:39], v[46:47], s[12:13], v[38:39]
	v_add_f64 v[36:37], v[36:37], v[194:195]
	v_fma_f64 v[44:45], v[48:49], s[4:5], v[44:45]
	v_fma_f64 v[38:39], v[48:49], s[4:5], v[38:39]
	v_add_f64 v[48:49], v[182:183], v[194:195]
	v_add_f64 v[194:195], v[12:13], v[36:37]
	v_mul_f64 v[54:55], v[38:39], s[12:13]
	v_fma_f64 v[48:49], v[48:49], -0.5, v[198:199]
	v_mul_f64 v[38:39], v[38:39], s[22:23]
	v_fma_f64 v[54:55], v[24:25], s[22:23], v[54:55]
	v_fma_f64 v[50:51], v[46:47], s[2:3], v[48:49]
	;; [unrolled: 1-line block ×4, first 2 shown]
	v_add_f64 v[38:39], v[4:5], -v[22:23]
	v_add_f64 v[22:23], v[102:103], -v[138:139]
	v_add_f64 v[4:5], v[152:153], v[160:161]
	v_add_f64 v[208:209], v[8:9], v[54:55]
	v_fma_f64 v[50:51], v[42:43], s[16:17], v[50:51]
	v_fma_f64 v[42:43], v[42:43], s[12:13], v[46:47]
	v_mul_f64 v[46:47], v[44:45], s[12:13]
	v_add_f64 v[54:55], v[8:9], -v[54:55]
	v_add_f64 v[8:9], v[162:163], -v[102:103]
	v_add_f64 v[210:211], v[14:15], v[24:25]
	v_add_f64 v[4:5], v[4:5], v[156:157]
	v_fma_f64 v[50:51], v[52:53], s[4:5], v[50:51]
	v_fma_f64 v[42:43], v[52:53], s[4:5], v[42:43]
	;; [unrolled: 1-line block ×3, first 2 shown]
	v_mul_f64 v[34:35], v[34:35], s[16:17]
	v_add_f64 v[4:5], v[4:5], v[136:137]
	v_mul_f64 v[48:49], v[50:51], s[2:3]
	v_mul_f64 v[52:53], v[42:43], s[2:3]
	v_add_f64 v[196:197], v[6:7], v[46:47]
	v_fma_f64 v[34:35], v[44:45], s[20:21], v[34:35]
	v_mul_f64 v[44:45], v[50:51], s[4:5]
	v_add_f64 v[4:5], v[4:5], v[100:101]
	v_fma_f64 v[48:49], v[40:41], s[4:5], v[48:49]
	v_fma_f64 v[52:53], v[32:33], s[18:19], v[52:53]
	v_add_f64 v[198:199], v[20:21], v[34:35]
	v_fma_f64 v[56:57], v[40:41], s[14:15], v[44:45]
	v_mul_f64 v[40:41], v[42:43], s[18:19]
	v_add_f64 v[42:43], v[6:7], -v[46:47]
	v_add_f64 v[6:7], v[156:157], v[136:137]
	v_add_f64 v[200:201], v[16:17], v[48:49]
	;; [unrolled: 1-line block ×3, first 2 shown]
	v_add_f64 v[50:51], v[10:11], -v[52:53]
	v_add_f64 v[46:47], v[16:17], -v[48:49]
	v_add_f64 v[202:203], v[26:27], v[56:57]
	v_fma_f64 v[32:33], v[32:33], s[14:15], v[40:41]
	v_add_f64 v[40:41], v[12:13], -v[36:37]
	v_fma_f64 v[10:11], v[6:7], -0.5, v[152:153]
	v_add_f64 v[48:49], v[26:27], -v[56:57]
	v_add_f64 v[56:57], v[14:15], -v[24:25]
	v_add_f64 v[12:13], v[158:159], -v[138:139]
	v_add_f64 v[14:15], v[160:161], -v[156:157]
	v_add_f64 v[16:17], v[100:101], -v[136:137]
	v_add_f64 v[44:45], v[20:21], -v[34:35]
	v_add_f64 v[24:25], v[160:161], -v[100:101]
	v_fma_f64 v[6:7], v[8:9], s[2:3], v[10:11]
	v_fma_f64 v[10:11], v[8:9], s[14:15], v[10:11]
	v_add_f64 v[206:207], v[18:19], v[32:33]
	v_add_f64 v[52:53], v[18:19], -v[32:33]
	v_add_f64 v[26:27], v[156:157], -v[136:137]
	v_add_f64 v[14:15], v[14:15], v[16:17]
	v_add_f64 v[18:19], v[162:163], -v[158:159]
	v_add_f64 v[32:33], v[176:177], -v[144:145]
	v_fma_f64 v[6:7], v[12:13], s[12:13], v[6:7]
	v_fma_f64 v[10:11], v[12:13], s[16:17], v[10:11]
	v_add_f64 v[34:35], v[140:141], -v[148:149]
	v_add_f64 v[18:19], v[18:19], v[22:23]
	v_fma_f64 v[6:7], v[14:15], s[4:5], v[6:7]
	v_fma_f64 v[20:21], v[14:15], s[4:5], v[10:11]
	v_add_f64 v[14:15], v[158:159], v[138:139]
	v_add_f64 v[32:33], v[32:33], v[34:35]
	;; [unrolled: 1-line block ×3, first 2 shown]
	v_fma_f64 v[14:15], v[14:15], -0.5, v[154:155]
	v_add_f64 v[10:11], v[10:11], v[158:159]
	v_fma_f64 v[16:17], v[24:25], s[14:15], v[14:15]
	v_fma_f64 v[14:15], v[24:25], s[2:3], v[14:15]
	v_add_f64 v[10:11], v[10:11], v[138:139]
	v_fma_f64 v[16:17], v[26:27], s[16:17], v[16:17]
	v_fma_f64 v[14:15], v[26:27], s[12:13], v[14:15]
	v_add_f64 v[10:11], v[10:11], v[102:103]
	v_fma_f64 v[16:17], v[18:19], s[4:5], v[16:17]
	v_fma_f64 v[216:217], v[18:19], s[4:5], v[14:15]
	v_add_f64 v[18:19], v[144:145], v[148:149]
	v_add_f64 v[14:15], v[172:173], v[176:177]
	v_fma_f64 v[18:19], v[18:19], -0.5, v[172:173]
	v_add_f64 v[14:15], v[14:15], v[144:145]
	v_fma_f64 v[22:23], v[212:213], s[2:3], v[18:19]
	v_fma_f64 v[18:19], v[212:213], s[14:15], v[18:19]
	v_add_f64 v[14:15], v[14:15], v[148:149]
	v_fma_f64 v[22:23], v[214:215], s[12:13], v[22:23]
	v_fma_f64 v[18:19], v[214:215], s[16:17], v[18:19]
	v_add_f64 v[14:15], v[14:15], v[140:141]
	v_fma_f64 v[36:37], v[32:33], s[4:5], v[22:23]
	v_add_f64 v[22:23], v[146:147], v[150:151]
	v_fma_f64 v[58:59], v[32:33], s[4:5], v[18:19]
	v_add_f64 v[32:33], v[144:145], -v[148:149]
	v_add_f64 v[18:19], v[174:175], v[178:179]
	v_fma_f64 v[22:23], v[22:23], -0.5, v[174:175]
	v_add_f64 v[18:19], v[18:19], v[146:147]
	v_fma_f64 v[34:35], v[218:219], s[14:15], v[22:23]
	v_fma_f64 v[22:23], v[218:219], s[2:3], v[22:23]
	v_add_f64 v[18:19], v[18:19], v[150:151]
	v_fma_f64 v[34:35], v[32:33], s[16:17], v[34:35]
	v_fma_f64 v[22:23], v[32:33], s[12:13], v[22:23]
	;; [unrolled: 3-line block ×3, first 2 shown]
	v_add_f64 v[186:187], v[10:11], -v[18:19]
	v_mul_f64 v[22:23], v[182:183], s[12:13]
	v_mul_f64 v[34:35], v[184:185], s[12:13]
	v_fma_f64 v[22:23], v[36:37], s[20:21], v[22:23]
	v_mul_f64 v[36:37], v[36:37], s[16:17]
	v_fma_f64 v[34:35], v[58:59], s[22:23], v[34:35]
	v_add_f64 v[188:189], v[6:7], -v[22:23]
	v_fma_f64 v[166:167], v[182:183], s[20:21], v[36:37]
	v_mul_f64 v[36:37], v[184:185], s[22:23]
	v_add_f64 v[180:181], v[20:21], v[34:35]
	v_add_f64 v[184:185], v[4:5], -v[14:15]
	v_add_f64 v[190:191], v[16:17], -v[166:167]
	v_fma_f64 v[36:37], v[58:59], s[16:17], v[36:37]
	buffer_load_dword v58, off, s[24:27], 0 offset:588 ; 4-byte Folded Reload
	s_waitcnt vmcnt(0)
	ds_write_b128 v58, v[220:223]
	ds_write_b128 v58, v[224:227] offset:16
	ds_write_b128 v58, v[228:231] offset:32
	;; [unrolled: 1-line block ×9, first 2 shown]
	ds_write_b128 v165, v[192:195]
	ds_write_b128 v165, v[196:199] offset:16
	ds_write_b128 v165, v[200:203] offset:32
	;; [unrolled: 1-line block ×9, first 2 shown]
	v_add_f64 v[182:183], v[216:217], v[36:37]
	s_and_saveexec_b64 s[20:21], vcc
	s_cbranch_execz .LBB0_21
; %bb.20:
	v_add_f64 v[2:3], v[216:217], -v[36:37]
	v_add_f64 v[0:1], v[158:159], -v[162:163]
	;; [unrolled: 1-line block ×5, first 2 shown]
	v_add_f64 v[14:15], v[4:5], v[14:15]
	buffer_load_dword v4, off, s[24:27], 0 offset:1296 ; 4-byte Folded Reload
	v_add_f64 v[6:7], v[6:7], v[22:23]
	v_add_f64 v[0:1], v[0:1], v[36:37]
	;; [unrolled: 1-line block ×3, first 2 shown]
	v_fma_f64 v[38:39], v[36:37], -0.5, v[154:155]
	v_fma_f64 v[36:37], v[26:27], s[14:15], v[38:39]
	v_fma_f64 v[26:27], v[26:27], s[2:3], v[38:39]
	;; [unrolled: 1-line block ×5, first 2 shown]
	v_add_f64 v[36:37], v[144:145], -v[176:177]
	v_fma_f64 v[38:39], v[0:1], s[4:5], v[24:25]
	v_add_f64 v[42:43], v[36:37], v[42:43]
	v_add_f64 v[36:37], v[176:177], v[140:141]
	v_fma_f64 v[44:45], v[36:37], -0.5, v[172:173]
	v_fma_f64 v[36:37], v[214:215], s[2:3], v[44:45]
	v_fma_f64 v[0:1], v[214:215], s[14:15], v[44:45]
	;; [unrolled: 1-line block ×5, first 2 shown]
	v_add_f64 v[36:37], v[146:147], -v[178:179]
	v_fma_f64 v[24:25], v[42:43], s[4:5], v[0:1]
	s_waitcnt vmcnt(0)
	v_lshlrev_b32_e32 v4, 4, v4
	v_add_f64 v[48:49], v[36:37], v[48:49]
	v_add_f64 v[36:37], v[178:179], v[142:143]
	v_fma_f64 v[50:51], v[36:37], -0.5, v[174:175]
	v_fma_f64 v[0:1], v[32:33], s[2:3], v[50:51]
	v_fma_f64 v[36:37], v[32:33], s[14:15], v[50:51]
	;; [unrolled: 1-line block ×6, first 2 shown]
	v_mul_f64 v[0:1], v[32:33], s[4:5]
	v_mul_f64 v[36:37], v[52:53], s[18:19]
	v_fma_f64 v[42:43], v[24:25], s[14:15], v[0:1]
	v_add_f64 v[0:1], v[20:21], -v[34:35]
	v_add_f64 v[20:21], v[156:157], -v[160:161]
	;; [unrolled: 1-line block ×3, first 2 shown]
	v_fma_f64 v[54:55], v[46:47], s[14:15], v[36:37]
	v_add_f64 v[26:27], v[38:39], -v[42:43]
	v_add_f64 v[20:21], v[20:21], v[34:35]
	v_add_f64 v[34:35], v[160:161], v[100:101]
	v_add_f64 v[36:37], v[40:41], -v[54:55]
	v_fma_f64 v[44:45], v[34:35], -0.5, v[152:153]
	v_fma_f64 v[34:35], v[12:13], s[2:3], v[44:45]
	v_fma_f64 v[12:13], v[12:13], s[14:15], v[44:45]
	;; [unrolled: 1-line block ×4, first 2 shown]
	v_add_f64 v[12:13], v[40:41], v[54:55]
	v_fma_f64 v[48:49], v[20:21], s[4:5], v[34:35]
	v_fma_f64 v[44:45], v[20:21], s[4:5], v[8:9]
	v_mul_f64 v[8:9], v[32:33], s[2:3]
	v_mul_f64 v[34:35], v[52:53], s[2:3]
	v_add_f64 v[20:21], v[38:39], v[42:43]
	v_fma_f64 v[32:33], v[24:25], s[4:5], v[8:9]
	v_fma_f64 v[46:47], v[46:47], s[18:19], v[34:35]
	v_add_f64 v[8:9], v[16:17], v[166:167]
	v_add_f64 v[16:17], v[10:11], v[18:19]
	;; [unrolled: 1-line block ×4, first 2 shown]
	v_add_f64 v[24:25], v[44:45], -v[32:33]
	v_add_f64 v[34:35], v[48:49], -v[46:47]
	ds_write_b128 v4, v[14:17]
	ds_write_b128 v4, v[6:9] offset:16
	ds_write_b128 v4, v[18:21] offset:32
	;; [unrolled: 1-line block ×9, first 2 shown]
.LBB0_21:
	s_or_b64 exec, exec, s[20:21]
	s_waitcnt lgkmcnt(0)
	s_barrier
	ds_read_b128 v[156:159], v164 offset:1440
	ds_read_b128 v[148:151], v164 offset:2880
	;; [unrolled: 1-line block ×22, first 2 shown]
	ds_read_b128 v[160:163], v164
	ds_read_b128 v[152:155], v164 offset:34080
	s_and_saveexec_b64 s[2:3], s[0:1]
	s_cbranch_execz .LBB0_23
; %bb.22:
	ds_read_b128 v[184:187], v164 offset:23520
	ds_read_b128 v[180:183], v164 offset:11520
	;; [unrolled: 1-line block ×3, first 2 shown]
.LBB0_23:
	s_or_b64 exec, exec, s[2:3]
	buffer_load_dword v6, off, s[24:27], 0 offset:364 ; 4-byte Folded Reload
	buffer_load_dword v7, off, s[24:27], 0 offset:368 ; 4-byte Folded Reload
	;; [unrolled: 1-line block ×4, first 2 shown]
	s_mov_b32 s2, 0xe8584caa
	s_mov_b32 s3, 0xbfebb67a
	;; [unrolled: 1-line block ×4, first 2 shown]
	s_waitcnt vmcnt(0) lgkmcnt(5)
	v_mul_f64 v[4:5], v[8:9], v[242:243]
	v_fma_f64 v[32:33], v[6:7], v[240:241], v[4:5]
	v_mul_f64 v[4:5], v[8:9], v[240:241]
	v_fma_f64 v[34:35], v[6:7], v[242:243], -v[4:5]
	buffer_load_dword v6, off, s[24:27], 0 offset:348 ; 4-byte Folded Reload
	buffer_load_dword v7, off, s[24:27], 0 offset:352 ; 4-byte Folded Reload
	;; [unrolled: 1-line block ×4, first 2 shown]
	s_waitcnt vmcnt(0) lgkmcnt(3)
	v_mul_f64 v[4:5], v[8:9], v[238:239]
	v_fma_f64 v[36:37], v[6:7], v[236:237], v[4:5]
	v_mul_f64 v[4:5], v[8:9], v[236:237]
	v_fma_f64 v[38:39], v[6:7], v[238:239], -v[4:5]
	buffer_load_dword v6, off, s[24:27], 0 offset:396 ; 4-byte Folded Reload
	buffer_load_dword v7, off, s[24:27], 0 offset:400 ; 4-byte Folded Reload
	buffer_load_dword v8, off, s[24:27], 0 offset:404 ; 4-byte Folded Reload
	buffer_load_dword v9, off, s[24:27], 0 offset:408 ; 4-byte Folded Reload
	s_waitcnt vmcnt(0)
	v_mul_f64 v[4:5], v[8:9], v[234:235]
	v_fma_f64 v[40:41], v[6:7], v[232:233], v[4:5]
	v_mul_f64 v[4:5], v[8:9], v[232:233]
	v_fma_f64 v[42:43], v[6:7], v[234:235], -v[4:5]
	buffer_load_dword v6, off, s[24:27], 0 offset:380 ; 4-byte Folded Reload
	buffer_load_dword v7, off, s[24:27], 0 offset:384 ; 4-byte Folded Reload
	buffer_load_dword v8, off, s[24:27], 0 offset:388 ; 4-byte Folded Reload
	buffer_load_dword v9, off, s[24:27], 0 offset:392 ; 4-byte Folded Reload
	s_waitcnt vmcnt(0)
	;; [unrolled: 9-line block ×12, first 2 shown]
	v_mul_f64 v[4:5], v[8:9], v[178:179]
	v_fma_f64 v[22:23], v[6:7], v[176:177], v[4:5]
	v_mul_f64 v[4:5], v[8:9], v[176:177]
	v_fma_f64 v[26:27], v[6:7], v[178:179], -v[4:5]
	buffer_load_dword v6, off, s[24:27], 0 offset:592 ; 4-byte Folded Reload
	buffer_load_dword v7, off, s[24:27], 0 offset:596 ; 4-byte Folded Reload
	;; [unrolled: 1-line block ×4, first 2 shown]
	s_waitcnt vmcnt(0) lgkmcnt(2)
	v_mul_f64 v[4:5], v[8:9], v[174:175]
	v_fma_f64 v[12:13], v[6:7], v[172:173], v[4:5]
	v_mul_f64 v[4:5], v[8:9], v[172:173]
	v_fma_f64 v[14:15], v[6:7], v[174:175], -v[4:5]
	buffer_load_dword v6, off, s[24:27], 0 offset:572 ; 4-byte Folded Reload
	buffer_load_dword v7, off, s[24:27], 0 offset:576 ; 4-byte Folded Reload
	;; [unrolled: 1-line block ×4, first 2 shown]
	s_waitcnt vmcnt(0) lgkmcnt(0)
	v_mul_f64 v[4:5], v[8:9], v[154:155]
	v_fma_f64 v[16:17], v[6:7], v[152:153], v[4:5]
	v_mul_f64 v[4:5], v[8:9], v[152:153]
	buffer_load_dword v8, off, s[24:27], 0 offset:624 ; 4-byte Folded Reload
	buffer_load_dword v9, off, s[24:27], 0 offset:628 ; 4-byte Folded Reload
	;; [unrolled: 1-line block ×4, first 2 shown]
	v_fma_f64 v[18:19], v[6:7], v[154:155], -v[4:5]
	buffer_load_dword v152, off, s[24:27], 0 offset:608 ; 4-byte Folded Reload
	buffer_load_dword v153, off, s[24:27], 0 offset:612 ; 4-byte Folded Reload
	;; [unrolled: 1-line block ×4, first 2 shown]
	s_waitcnt vmcnt(0)
	s_barrier
	v_mul_f64 v[4:5], v[10:11], v[186:187]
	v_mul_f64 v[6:7], v[10:11], v[184:185]
	v_fma_f64 v[4:5], v[8:9], v[184:185], v[4:5]
	v_fma_f64 v[10:11], v[8:9], v[186:187], -v[6:7]
	v_mul_f64 v[6:7], v[154:155], v[190:191]
	v_mul_f64 v[8:9], v[154:155], v[188:189]
	v_add_f64 v[154:155], v[32:33], v[36:37]
	v_fma_f64 v[6:7], v[152:153], v[188:189], v[6:7]
	v_fma_f64 v[8:9], v[152:153], v[190:191], -v[8:9]
	v_add_f64 v[152:153], v[160:161], v[32:33]
	v_fma_f64 v[154:155], v[154:155], -0.5, v[160:161]
	v_add_f64 v[160:161], v[34:35], -v[38:39]
	v_add_f64 v[32:33], v[32:33], -v[36:37]
	v_add_f64 v[152:153], v[152:153], v[36:37]
	v_add_f64 v[36:37], v[50:51], -v[54:55]
	v_fma_f64 v[172:173], v[160:161], s[2:3], v[154:155]
	v_fma_f64 v[160:161], v[160:161], s[4:5], v[154:155]
	v_add_f64 v[154:155], v[162:163], v[34:35]
	v_add_f64 v[34:35], v[34:35], v[38:39]
	;; [unrolled: 1-line block ×3, first 2 shown]
	v_fma_f64 v[34:35], v[34:35], -0.5, v[162:163]
	v_add_f64 v[38:39], v[48:49], -v[52:53]
	v_fma_f64 v[174:175], v[32:33], s[4:5], v[34:35]
	v_fma_f64 v[162:163], v[32:33], s[2:3], v[34:35]
	v_add_f64 v[32:33], v[156:157], v[40:41]
	v_add_f64 v[34:35], v[42:43], -v[46:47]
	v_add_f64 v[176:177], v[32:33], v[44:45]
	v_add_f64 v[32:33], v[40:41], v[44:45]
	v_fma_f64 v[32:33], v[32:33], -0.5, v[156:157]
	v_fma_f64 v[184:185], v[34:35], s[2:3], v[32:33]
	v_fma_f64 v[156:157], v[34:35], s[4:5], v[32:33]
	v_add_f64 v[32:33], v[158:159], v[42:43]
	v_add_f64 v[34:35], v[40:41], -v[44:45]
	v_add_f64 v[178:179], v[32:33], v[46:47]
	v_add_f64 v[32:33], v[42:43], v[46:47]
	v_add_f64 v[42:43], v[58:59], -v[212:213]
	v_fma_f64 v[32:33], v[32:33], -0.5, v[158:159]
	v_fma_f64 v[186:187], v[34:35], s[4:5], v[32:33]
	v_fma_f64 v[158:159], v[34:35], s[2:3], v[32:33]
	v_add_f64 v[32:33], v[148:149], v[48:49]
	v_add_f64 v[188:189], v[32:33], v[52:53]
	;; [unrolled: 1-line block ×3, first 2 shown]
	v_add_f64 v[48:49], v[56:57], -v[216:217]
	v_fma_f64 v[34:35], v[32:33], -0.5, v[148:149]
	v_fma_f64 v[32:33], v[36:37], s[2:3], v[34:35]
	v_fma_f64 v[148:149], v[36:37], s[4:5], v[34:35]
	v_add_f64 v[34:35], v[150:151], v[50:51]
	v_add_f64 v[190:191], v[34:35], v[54:55]
	;; [unrolled: 1-line block ×4, first 2 shown]
	v_add_f64 v[54:55], v[208:209], -v[204:205]
	v_fma_f64 v[36:37], v[34:35], -0.5, v[150:151]
	v_fma_f64 v[50:51], v[50:51], -0.5, v[140:141]
	v_fma_f64 v[34:35], v[38:39], s[4:5], v[36:37]
	v_fma_f64 v[150:151], v[38:39], s[2:3], v[36:37]
	v_add_f64 v[38:39], v[56:57], v[216:217]
	v_add_f64 v[36:37], v[144:145], v[56:57]
	v_fma_f64 v[52:53], v[54:55], s[2:3], v[50:51]
	v_fma_f64 v[56:57], v[54:55], s[4:5], v[50:51]
	v_add_f64 v[54:55], v[208:209], v[204:205]
	v_add_f64 v[50:51], v[142:143], v[208:209]
	v_fma_f64 v[38:39], v[38:39], -0.5, v[144:145]
	v_add_f64 v[36:37], v[36:37], v[216:217]
	v_add_f64 v[50:51], v[50:51], v[204:205]
	v_fma_f64 v[40:41], v[42:43], s[2:3], v[38:39]
	v_fma_f64 v[44:45], v[42:43], s[4:5], v[38:39]
	v_add_f64 v[42:43], v[58:59], v[212:213]
	v_add_f64 v[38:39], v[146:147], v[58:59]
	v_fma_f64 v[58:59], v[54:55], -0.5, v[142:143]
	v_add_f64 v[142:143], v[166:167], v[202:203]
	v_fma_f64 v[46:47], v[42:43], -0.5, v[146:147]
	v_add_f64 v[38:39], v[38:39], v[212:213]
	v_fma_f64 v[42:43], v[48:49], s[4:5], v[46:47]
	v_fma_f64 v[46:47], v[48:49], s[2:3], v[46:47]
	v_add_f64 v[48:49], v[140:141], v[214:215]
	v_add_f64 v[140:141], v[214:215], -v[210:211]
	v_add_f64 v[48:49], v[48:49], v[210:211]
	v_fma_f64 v[54:55], v[140:141], s[4:5], v[58:59]
	v_fma_f64 v[58:59], v[140:141], s[2:3], v[58:59]
	v_add_f64 v[140:141], v[136:137], v[166:167]
	v_fma_f64 v[136:137], v[142:143], -0.5, v[136:137]
	v_add_f64 v[142:143], v[200:201], -v[196:197]
	v_add_f64 v[140:141], v[140:141], v[202:203]
	v_fma_f64 v[144:145], v[142:143], s[2:3], v[136:137]
	v_fma_f64 v[192:193], v[142:143], s[4:5], v[136:137]
	v_add_f64 v[136:137], v[138:139], v[200:201]
	v_add_f64 v[142:143], v[136:137], v[196:197]
	;; [unrolled: 1-line block ×3, first 2 shown]
	v_fma_f64 v[136:137], v[136:137], -0.5, v[138:139]
	v_add_f64 v[138:139], v[166:167], -v[202:203]
	v_fma_f64 v[146:147], v[138:139], s[4:5], v[136:137]
	v_fma_f64 v[194:195], v[138:139], s[2:3], v[136:137]
	v_add_f64 v[136:137], v[100:101], v[20:21]
	v_add_f64 v[196:197], v[136:137], v[22:23]
	;; [unrolled: 1-line block ×3, first 2 shown]
	v_add_f64 v[20:21], v[20:21], -v[22:23]
	v_add_f64 v[22:23], v[12:13], v[16:17]
	v_fma_f64 v[100:101], v[136:137], -0.5, v[100:101]
	v_add_f64 v[136:137], v[24:25], -v[26:27]
	v_fma_f64 v[22:23], v[22:23], -0.5, v[0:1]
	v_fma_f64 v[200:201], v[136:137], s[2:3], v[100:101]
	v_fma_f64 v[204:205], v[136:137], s[4:5], v[100:101]
	v_add_f64 v[100:101], v[102:103], v[24:25]
	v_add_f64 v[24:25], v[24:25], v[26:27]
	;; [unrolled: 1-line block ×3, first 2 shown]
	v_fma_f64 v[24:25], v[24:25], -0.5, v[102:103]
	v_fma_f64 v[202:203], v[20:21], s[4:5], v[24:25]
	v_fma_f64 v[206:207], v[20:21], s[2:3], v[24:25]
	v_add_f64 v[24:25], v[14:15], -v[18:19]
	v_add_f64 v[20:21], v[0:1], v[12:13]
	v_add_f64 v[12:13], v[12:13], -v[16:17]
	v_fma_f64 v[0:1], v[24:25], s[2:3], v[22:23]
	v_fma_f64 v[24:25], v[24:25], s[4:5], v[22:23]
	v_add_f64 v[22:23], v[2:3], v[14:15]
	v_add_f64 v[14:15], v[14:15], v[18:19]
	;; [unrolled: 1-line block ×4, first 2 shown]
	v_fma_f64 v[14:15], v[14:15], -0.5, v[2:3]
	v_fma_f64 v[2:3], v[12:13], s[4:5], v[14:15]
	v_fma_f64 v[26:27], v[12:13], s[2:3], v[14:15]
	v_add_f64 v[12:13], v[4:5], v[6:7]
	v_add_f64 v[14:15], v[10:11], -v[8:9]
	v_fma_f64 v[12:13], v[12:13], -0.5, v[180:181]
	v_fma_f64 v[100:101], v[14:15], s[2:3], v[12:13]
	v_fma_f64 v[136:137], v[14:15], s[4:5], v[12:13]
	v_add_f64 v[12:13], v[10:11], v[8:9]
	v_add_f64 v[14:15], v[4:5], -v[6:7]
	v_fma_f64 v[12:13], v[12:13], -0.5, v[182:183]
	v_fma_f64 v[102:103], v[14:15], s[4:5], v[12:13]
	v_fma_f64 v[138:139], v[14:15], s[2:3], v[12:13]
	buffer_load_dword v12, off, s[24:27], 0 offset:640 ; 4-byte Folded Reload
	s_waitcnt vmcnt(0)
	ds_write_b128 v12, v[152:155]
	ds_write_b128 v12, v[172:175] offset:160
	ds_write_b128 v12, v[160:163] offset:320
	buffer_load_dword v12, off, s[24:27], 0 offset:644 ; 4-byte Folded Reload
	s_waitcnt vmcnt(0)
	ds_write_b128 v12, v[176:179]
	ds_write_b128 v12, v[184:187] offset:160
	ds_write_b128 v12, v[156:159] offset:320
	;; [unrolled: 5-line block ×8, first 2 shown]
	s_and_saveexec_b64 s[2:3], s[0:1]
	s_cbranch_execz .LBB0_25
; %bb.24:
	v_add_f64 v[0:1], v[182:183], v[10:11]
	v_add_f64 v[4:5], v[180:181], v[4:5]
	;; [unrolled: 1-line block ×4, first 2 shown]
	buffer_load_dword v4, off, s[24:27], 0 offset:340 ; 4-byte Folded Reload
	buffer_load_dword v5, off, s[24:27], 0 offset:344 ; 4-byte Folded Reload
	s_waitcnt vmcnt(0)
	v_mad_legacy_u16 v4, v4, 30, v5
	v_lshlrev_b32_e32 v4, 4, v4
	ds_write_b128 v4, v[100:103] offset:160
	ds_write_b128 v4, v[0:3]
	ds_write_b128 v4, v[136:139] offset:320
.LBB0_25:
	s_or_b64 exec, exec, s[2:3]
	s_waitcnt lgkmcnt(0)
	s_barrier
	ds_read_b128 v[0:3], v164
	ds_read_b128 v[4:7], v164 offset:7200
	ds_read_b128 v[8:11], v164 offset:14400
	;; [unrolled: 1-line block ×24, first 2 shown]
	buffer_load_dword v196, off, s[24:27], 0 offset:720 ; 4-byte Folded Reload
	buffer_load_dword v197, off, s[24:27], 0 offset:724 ; 4-byte Folded Reload
	;; [unrolled: 1-line block ×4, first 2 shown]
	s_mov_b32 s12, 0x134454ff
	s_mov_b32 s13, 0xbfee6f0e
	;; [unrolled: 1-line block ×8, first 2 shown]
	s_waitcnt vmcnt(0) lgkmcnt(14)
	v_mul_f64 v[140:141], v[198:199], v[6:7]
	v_fma_f64 v[188:189], v[196:197], v[4:5], v[140:141]
	v_mul_f64 v[4:5], v[198:199], v[4:5]
	buffer_load_dword v198, off, s[24:27], 0 offset:704 ; 4-byte Folded Reload
	buffer_load_dword v199, off, s[24:27], 0 offset:708 ; 4-byte Folded Reload
	;; [unrolled: 1-line block ×4, first 2 shown]
	v_fma_f64 v[196:197], v[196:197], v[6:7], -v[4:5]
	s_waitcnt vmcnt(0)
	v_mul_f64 v[4:5], v[200:201], v[10:11]
	v_fma_f64 v[234:235], v[198:199], v[8:9], v[4:5]
	v_mul_f64 v[4:5], v[200:201], v[8:9]
	buffer_load_dword v6, off, s[24:27], 0 offset:688 ; 4-byte Folded Reload
	buffer_load_dword v7, off, s[24:27], 0 offset:692 ; 4-byte Folded Reload
	;; [unrolled: 1-line block ×4, first 2 shown]
	v_fma_f64 v[236:237], v[198:199], v[10:11], -v[4:5]
	s_waitcnt vmcnt(0)
	v_mul_f64 v[4:5], v[8:9], v[14:15]
	v_fma_f64 v[238:239], v[6:7], v[12:13], v[4:5]
	v_mul_f64 v[4:5], v[8:9], v[12:13]
	v_fma_f64 v[240:241], v[6:7], v[14:15], -v[4:5]
	buffer_load_dword v6, off, s[24:27], 0 offset:672 ; 4-byte Folded Reload
	buffer_load_dword v7, off, s[24:27], 0 offset:676 ; 4-byte Folded Reload
	buffer_load_dword v8, off, s[24:27], 0 offset:680 ; 4-byte Folded Reload
	buffer_load_dword v9, off, s[24:27], 0 offset:684 ; 4-byte Folded Reload
	s_waitcnt vmcnt(0)
	v_mul_f64 v[4:5], v[8:9], v[18:19]
	v_fma_f64 v[242:243], v[6:7], v[16:17], v[4:5]
	v_mul_f64 v[4:5], v[8:9], v[16:17]
	v_fma_f64 v[244:245], v[6:7], v[18:19], -v[4:5]
	buffer_load_dword v6, off, s[24:27], 0 offset:784 ; 4-byte Folded Reload
	buffer_load_dword v7, off, s[24:27], 0 offset:788 ; 4-byte Folded Reload
	buffer_load_dword v8, off, s[24:27], 0 offset:792 ; 4-byte Folded Reload
	buffer_load_dword v9, off, s[24:27], 0 offset:796 ; 4-byte Folded Reload
	;; [unrolled: 9-line block ×6, first 2 shown]
	v_add_f64 v[38:39], v[236:237], -v[240:241]
	s_waitcnt vmcnt(0) lgkmcnt(13)
	v_mul_f64 v[4:5], v[8:9], v[42:43]
	v_fma_f64 v[206:207], v[6:7], v[40:41], v[4:5]
	v_mul_f64 v[4:5], v[8:9], v[40:41]
	v_add_f64 v[40:41], v[188:189], -v[234:235]
	v_fma_f64 v[214:215], v[6:7], v[42:43], -v[4:5]
	buffer_load_dword v6, off, s[24:27], 0 offset:832 ; 4-byte Folded Reload
	buffer_load_dword v7, off, s[24:27], 0 offset:836 ; 4-byte Folded Reload
	;; [unrolled: 1-line block ×4, first 2 shown]
	v_add_f64 v[42:43], v[242:243], -v[238:239]
	v_add_f64 v[40:41], v[40:41], v[42:43]
	v_add_f64 v[42:43], v[202:203], -v[204:205]
	s_waitcnt vmcnt(0) lgkmcnt(12)
	v_mul_f64 v[4:5], v[8:9], v[46:47]
	v_fma_f64 v[210:211], v[6:7], v[44:45], v[4:5]
	v_mul_f64 v[4:5], v[8:9], v[44:45]
	v_fma_f64 v[216:217], v[6:7], v[46:47], -v[4:5]
	buffer_load_dword v6, off, s[24:27], 0 offset:816 ; 4-byte Folded Reload
	buffer_load_dword v7, off, s[24:27], 0 offset:820 ; 4-byte Folded Reload
	buffer_load_dword v8, off, s[24:27], 0 offset:824 ; 4-byte Folded Reload
	buffer_load_dword v9, off, s[24:27], 0 offset:828 ; 4-byte Folded Reload
	s_waitcnt vmcnt(0) lgkmcnt(11)
	v_mul_f64 v[4:5], v[8:9], v[50:51]
	v_fma_f64 v[224:225], v[6:7], v[48:49], v[4:5]
	v_mul_f64 v[4:5], v[8:9], v[48:49]
	v_fma_f64 v[218:219], v[6:7], v[50:51], -v[4:5]
	buffer_load_dword v6, off, s[24:27], 0 offset:800 ; 4-byte Folded Reload
	buffer_load_dword v7, off, s[24:27], 0 offset:804 ; 4-byte Folded Reload
	buffer_load_dword v8, off, s[24:27], 0 offset:808 ; 4-byte Folded Reload
	buffer_load_dword v9, off, s[24:27], 0 offset:812 ; 4-byte Folded Reload
	;; [unrolled: 9-line block ×3, first 2 shown]
	s_waitcnt vmcnt(0) lgkmcnt(8)
	v_mul_f64 v[4:5], v[8:9], v[58:59]
	v_fma_f64 v[140:141], v[6:7], v[56:57], v[4:5]
	v_mul_f64 v[4:5], v[8:9], v[56:57]
	buffer_load_dword v8, off, s[24:27], 0 offset:896 ; 4-byte Folded Reload
	buffer_load_dword v9, off, s[24:27], 0 offset:900 ; 4-byte Folded Reload
	;; [unrolled: 1-line block ×4, first 2 shown]
	v_fma_f64 v[6:7], v[6:7], v[58:59], -v[4:5]
	s_waitcnt vmcnt(0) lgkmcnt(7)
	v_mul_f64 v[4:5], v[10:11], v[152:153]
	v_fma_f64 v[162:163], v[8:9], v[150:151], v[4:5]
	v_mul_f64 v[4:5], v[10:11], v[150:151]
	v_fma_f64 v[22:23], v[8:9], v[152:153], -v[4:5]
	buffer_load_dword v8, off, s[24:27], 0 offset:880 ; 4-byte Folded Reload
	buffer_load_dword v9, off, s[24:27], 0 offset:884 ; 4-byte Folded Reload
	buffer_load_dword v10, off, s[24:27], 0 offset:888 ; 4-byte Folded Reload
	buffer_load_dword v11, off, s[24:27], 0 offset:892 ; 4-byte Folded Reload
	s_waitcnt vmcnt(0) lgkmcnt(6)
	v_mul_f64 v[4:5], v[10:11], v[156:157]
	v_fma_f64 v[166:167], v[8:9], v[154:155], v[4:5]
	v_mul_f64 v[4:5], v[10:11], v[154:155]
	v_fma_f64 v[24:25], v[8:9], v[156:157], -v[4:5]
	buffer_load_dword v8, off, s[24:27], 0 offset:864 ; 4-byte Folded Reload
	buffer_load_dword v9, off, s[24:27], 0 offset:868 ; 4-byte Folded Reload
	buffer_load_dword v10, off, s[24:27], 0 offset:872 ; 4-byte Folded Reload
	buffer_load_dword v11, off, s[24:27], 0 offset:876 ; 4-byte Folded Reload
	;; [unrolled: 9-line block ×3, first 2 shown]
	s_waitcnt vmcnt(0) lgkmcnt(3)
	v_mul_f64 v[4:5], v[10:11], v[174:175]
	v_fma_f64 v[16:17], v[8:9], v[172:173], v[4:5]
	v_mul_f64 v[4:5], v[10:11], v[172:173]
	buffer_load_dword v10, off, s[24:27], 0 offset:960 ; 4-byte Folded Reload
	buffer_load_dword v11, off, s[24:27], 0 offset:964 ; 4-byte Folded Reload
	buffer_load_dword v12, off, s[24:27], 0 offset:968 ; 4-byte Folded Reload
	buffer_load_dword v13, off, s[24:27], 0 offset:972 ; 4-byte Folded Reload
	v_fma_f64 v[8:9], v[8:9], v[174:175], -v[4:5]
	s_waitcnt vmcnt(0) lgkmcnt(2)
	v_mul_f64 v[4:5], v[12:13], v[178:179]
	v_fma_f64 v[18:19], v[10:11], v[176:177], v[4:5]
	v_mul_f64 v[4:5], v[12:13], v[176:177]
	buffer_load_dword v12, off, s[24:27], 0 offset:944 ; 4-byte Folded Reload
	buffer_load_dword v13, off, s[24:27], 0 offset:948 ; 4-byte Folded Reload
	;; [unrolled: 1-line block ×8, first 2 shown]
	s_waitcnt vmcnt(0) lgkmcnt(0)
	s_barrier
	v_fma_f64 v[10:11], v[10:11], v[178:179], -v[4:5]
	v_mul_f64 v[4:5], v[14:15], v[186:187]
	v_fma_f64 v[20:21], v[12:13], v[184:185], v[4:5]
	v_mul_f64 v[4:5], v[14:15], v[184:185]
	v_mul_f64 v[14:15], v[34:35], v[230:231]
	v_fma_f64 v[12:13], v[12:13], v[186:187], -v[4:5]
	v_mul_f64 v[4:5], v[34:35], v[232:233]
	v_fma_f64 v[14:15], v[32:33], v[232:233], -v[14:15]
	v_add_f64 v[34:35], v[196:197], -v[244:245]
	v_fma_f64 v[4:5], v[32:33], v[230:231], v[4:5]
	v_add_f64 v[32:33], v[0:1], v[188:189]
	v_add_f64 v[32:33], v[32:33], v[234:235]
	;; [unrolled: 1-line block ×5, first 2 shown]
	v_fma_f64 v[32:33], v[32:33], -0.5, v[0:1]
	v_fma_f64 v[36:37], v[34:35], s[12:13], v[32:33]
	v_fma_f64 v[32:33], v[34:35], s[14:15], v[32:33]
	;; [unrolled: 1-line block ×6, first 2 shown]
	v_add_f64 v[32:33], v[188:189], v[242:243]
	v_add_f64 v[36:37], v[234:235], -v[188:189]
	v_add_f64 v[40:41], v[238:239], -v[242:243]
	v_fma_f64 v[0:1], v[32:33], -0.5, v[0:1]
	v_add_f64 v[36:37], v[36:37], v[40:41]
	v_add_f64 v[40:41], v[244:245], -v[240:241]
	v_fma_f64 v[32:33], v[38:39], s[14:15], v[0:1]
	v_fma_f64 v[0:1], v[38:39], s[12:13], v[0:1]
	v_add_f64 v[38:39], v[196:197], -v[236:237]
	v_fma_f64 v[32:33], v[34:35], s[4:5], v[32:33]
	v_fma_f64 v[0:1], v[34:35], s[16:17], v[0:1]
	v_add_f64 v[38:39], v[38:39], v[40:41]
	v_add_f64 v[40:41], v[212:213], -v[228:229]
	v_fma_f64 v[176:177], v[36:37], s[2:3], v[32:33]
	v_fma_f64 v[172:173], v[36:37], s[2:3], v[0:1]
	v_add_f64 v[0:1], v[2:3], v[196:197]
	v_add_f64 v[32:33], v[188:189], -v[242:243]
	v_add_f64 v[36:37], v[234:235], -v[238:239]
	v_add_f64 v[0:1], v[0:1], v[236:237]
	v_add_f64 v[0:1], v[0:1], v[240:241]
	;; [unrolled: 1-line block ×4, first 2 shown]
	v_fma_f64 v[0:1], v[0:1], -0.5, v[2:3]
	v_fma_f64 v[34:35], v[32:33], s[14:15], v[0:1]
	v_fma_f64 v[0:1], v[32:33], s[12:13], v[0:1]
	;; [unrolled: 1-line block ×6, first 2 shown]
	v_add_f64 v[0:1], v[196:197], v[244:245]
	v_add_f64 v[34:35], v[236:237], -v[196:197]
	v_add_f64 v[38:39], v[240:241], -v[244:245]
	v_fma_f64 v[0:1], v[0:1], -0.5, v[2:3]
	v_add_f64 v[34:35], v[34:35], v[38:39]
	v_add_f64 v[38:39], v[228:229], -v[212:213]
	v_fma_f64 v[2:3], v[36:37], s[12:13], v[0:1]
	v_fma_f64 v[0:1], v[36:37], s[14:15], v[0:1]
	v_add_f64 v[36:37], v[190:191], -v[208:209]
	v_fma_f64 v[2:3], v[32:33], s[16:17], v[2:3]
	v_fma_f64 v[0:1], v[32:33], s[4:5], v[0:1]
	v_add_f64 v[36:37], v[36:37], v[38:39]
	v_add_f64 v[38:39], v[208:209], -v[190:191]
	v_fma_f64 v[178:179], v[34:35], s[2:3], v[2:3]
	v_fma_f64 v[174:175], v[34:35], s[2:3], v[0:1]
	v_add_f64 v[0:1], v[192:193], v[190:191]
	v_add_f64 v[2:3], v[198:199], -v[204:205]
	v_add_f64 v[34:35], v[200:201], -v[202:203]
	v_add_f64 v[38:39], v[38:39], v[40:41]
	v_add_f64 v[40:41], v[204:205], -v[202:203]
	v_add_f64 v[0:1], v[0:1], v[208:209]
	v_add_f64 v[0:1], v[0:1], v[212:213]
	;; [unrolled: 1-line block ×4, first 2 shown]
	v_fma_f64 v[0:1], v[0:1], -0.5, v[192:193]
	v_fma_f64 v[32:33], v[2:3], s[12:13], v[0:1]
	v_fma_f64 v[0:1], v[2:3], s[14:15], v[0:1]
	;; [unrolled: 1-line block ×5, first 2 shown]
	v_add_f64 v[32:33], v[190:191], v[228:229]
	v_fma_f64 v[0:1], v[36:37], s[2:3], v[0:1]
	v_fma_f64 v[32:33], v[32:33], -0.5, v[192:193]
	v_fma_f64 v[36:37], v[34:35], s[14:15], v[32:33]
	v_fma_f64 v[32:33], v[34:35], s[12:13], v[32:33]
	;; [unrolled: 1-line block ×4, first 2 shown]
	v_add_f64 v[32:33], v[190:191], -v[228:229]
	v_fma_f64 v[196:197], v[38:39], s[2:3], v[36:37]
	v_fma_f64 v[192:193], v[38:39], s[2:3], v[2:3]
	v_add_f64 v[2:3], v[194:195], v[198:199]
	v_add_f64 v[36:37], v[208:209], -v[212:213]
	v_add_f64 v[38:39], v[198:199], -v[200:201]
	v_add_f64 v[2:3], v[2:3], v[200:201]
	v_add_f64 v[38:39], v[38:39], v[40:41]
	v_add_f64 v[40:41], v[200:201], -v[198:199]
	v_add_f64 v[2:3], v[2:3], v[202:203]
	v_add_f64 v[40:41], v[40:41], v[42:43]
	;; [unrolled: 3-line block ×3, first 2 shown]
	v_fma_f64 v[2:3], v[2:3], -0.5, v[194:195]
	v_fma_f64 v[34:35], v[32:33], s[14:15], v[2:3]
	v_fma_f64 v[2:3], v[32:33], s[12:13], v[2:3]
	;; [unrolled: 1-line block ×5, first 2 shown]
	v_add_f64 v[34:35], v[198:199], v[204:205]
	v_fma_f64 v[2:3], v[38:39], s[2:3], v[2:3]
	v_fma_f64 v[34:35], v[34:35], -0.5, v[194:195]
	v_fma_f64 v[38:39], v[36:37], s[12:13], v[34:35]
	v_fma_f64 v[34:35], v[36:37], s[14:15], v[34:35]
	v_fma_f64 v[38:39], v[32:33], s[16:17], v[38:39]
	v_fma_f64 v[32:33], v[32:33], s[4:5], v[34:35]
	v_add_f64 v[34:35], v[214:215], -v[220:221]
	v_fma_f64 v[198:199], v[40:41], s[2:3], v[38:39]
	v_fma_f64 v[194:195], v[40:41], s[2:3], v[32:33]
	v_add_f64 v[32:33], v[180:181], v[206:207]
	v_add_f64 v[38:39], v[216:217], -v[218:219]
	v_add_f64 v[40:41], v[206:207], -v[210:211]
	v_add_f64 v[32:33], v[32:33], v[210:211]
	v_add_f64 v[40:41], v[40:41], v[42:43]
	v_add_f64 v[42:43], v[224:225], -v[226:227]
	v_add_f64 v[32:33], v[32:33], v[224:225]
	v_add_f64 v[200:201], v[32:33], v[226:227]
	v_add_f64 v[32:33], v[210:211], v[224:225]
	v_fma_f64 v[32:33], v[32:33], -0.5, v[180:181]
	v_fma_f64 v[36:37], v[34:35], s[12:13], v[32:33]
	v_fma_f64 v[32:33], v[34:35], s[14:15], v[32:33]
	v_fma_f64 v[36:37], v[38:39], s[4:5], v[36:37]
	v_fma_f64 v[32:33], v[38:39], s[16:17], v[32:33]
	v_fma_f64 v[208:209], v[40:41], s[2:3], v[36:37]
	v_fma_f64 v[204:205], v[40:41], s[2:3], v[32:33]
	v_add_f64 v[32:33], v[206:207], v[226:227]
	v_add_f64 v[40:41], v[210:211], -v[206:207]
	v_fma_f64 v[32:33], v[32:33], -0.5, v[180:181]
	v_add_f64 v[40:41], v[40:41], v[42:43]
	v_add_f64 v[42:43], v[220:221], -v[218:219]
	v_fma_f64 v[36:37], v[38:39], s[14:15], v[32:33]
	v_fma_f64 v[32:33], v[38:39], s[12:13], v[32:33]
	v_add_f64 v[38:39], v[210:211], -v[224:225]
	v_fma_f64 v[36:37], v[34:35], s[4:5], v[36:37]
	v_fma_f64 v[32:33], v[34:35], s[16:17], v[32:33]
	v_add_f64 v[34:35], v[206:207], -v[226:227]
	v_fma_f64 v[212:213], v[40:41], s[2:3], v[36:37]
	v_fma_f64 v[180:181], v[40:41], s[2:3], v[32:33]
	v_add_f64 v[32:33], v[182:183], v[214:215]
	v_add_f64 v[40:41], v[214:215], -v[216:217]
	v_add_f64 v[32:33], v[32:33], v[216:217]
	v_add_f64 v[40:41], v[40:41], v[42:43]
	v_add_f64 v[42:43], v[218:219], -v[220:221]
	v_add_f64 v[32:33], v[32:33], v[218:219]
	v_add_f64 v[202:203], v[32:33], v[220:221]
	v_add_f64 v[32:33], v[216:217], v[218:219]
	v_fma_f64 v[32:33], v[32:33], -0.5, v[182:183]
	v_fma_f64 v[36:37], v[34:35], s[14:15], v[32:33]
	v_fma_f64 v[32:33], v[34:35], s[12:13], v[32:33]
	v_fma_f64 v[36:37], v[38:39], s[16:17], v[36:37]
	v_fma_f64 v[32:33], v[38:39], s[4:5], v[32:33]
	v_fma_f64 v[210:211], v[40:41], s[2:3], v[36:37]
	v_fma_f64 v[206:207], v[40:41], s[2:3], v[32:33]
	v_add_f64 v[32:33], v[214:215], v[220:221]
	v_add_f64 v[40:41], v[216:217], -v[214:215]
	v_fma_f64 v[32:33], v[32:33], -0.5, v[182:183]
	v_add_f64 v[40:41], v[40:41], v[42:43]
	v_add_f64 v[42:43], v[222:223], -v[166:167]
	v_fma_f64 v[36:37], v[38:39], s[12:13], v[32:33]
	v_fma_f64 v[32:33], v[38:39], s[14:15], v[32:33]
	v_add_f64 v[38:39], v[22:23], -v[24:25]
	v_fma_f64 v[36:37], v[34:35], s[16:17], v[36:37]
	v_fma_f64 v[32:33], v[34:35], s[4:5], v[32:33]
	v_add_f64 v[34:35], v[6:7], -v[26:27]
	v_fma_f64 v[214:215], v[40:41], s[2:3], v[36:37]
	v_fma_f64 v[182:183], v[40:41], s[2:3], v[32:33]
	v_add_f64 v[32:33], v[146:147], v[140:141]
	;; [unrolled: 28-line block ×3, first 2 shown]
	v_add_f64 v[40:41], v[6:7], -v[22:23]
	v_add_f64 v[32:33], v[32:33], v[22:23]
	v_add_f64 v[40:41], v[40:41], v[42:43]
	;; [unrolled: 1-line block ×5, first 2 shown]
	v_fma_f64 v[32:33], v[32:33], -0.5, v[148:149]
	v_fma_f64 v[36:37], v[34:35], s[14:15], v[32:33]
	v_fma_f64 v[32:33], v[34:35], s[12:13], v[32:33]
	;; [unrolled: 1-line block ×6, first 2 shown]
	v_add_f64 v[32:33], v[6:7], v[26:27]
	v_add_f64 v[6:7], v[22:23], -v[6:7]
	v_add_f64 v[22:23], v[24:25], -v[26:27]
	;; [unrolled: 1-line block ×3, first 2 shown]
	v_fma_f64 v[32:33], v[32:33], -0.5, v[148:149]
	v_add_f64 v[6:7], v[6:7], v[22:23]
	v_fma_f64 v[36:37], v[38:39], s[12:13], v[32:33]
	v_fma_f64 v[22:23], v[38:39], s[14:15], v[32:33]
	v_add_f64 v[32:33], v[16:17], -v[18:19]
	v_add_f64 v[38:39], v[20:21], -v[4:5]
	v_fma_f64 v[36:37], v[34:35], s[16:17], v[36:37]
	v_fma_f64 v[22:23], v[34:35], s[4:5], v[22:23]
	v_add_f64 v[34:35], v[10:11], -v[12:13]
	v_fma_f64 v[230:231], v[6:7], s[2:3], v[36:37]
	v_fma_f64 v[148:149], v[6:7], s[2:3], v[22:23]
	v_add_f64 v[6:7], v[142:143], v[16:17]
	v_add_f64 v[36:37], v[4:5], -v[20:21]
	v_add_f64 v[6:7], v[6:7], v[18:19]
	v_add_f64 v[36:37], v[32:33], v[36:37]
	;; [unrolled: 1-line block ×5, first 2 shown]
	v_fma_f64 v[6:7], v[6:7], -0.5, v[142:143]
	v_fma_f64 v[26:27], v[24:25], s[12:13], v[6:7]
	v_fma_f64 v[6:7], v[24:25], s[14:15], v[6:7]
	;; [unrolled: 1-line block ×6, first 2 shown]
	v_add_f64 v[6:7], v[16:17], v[4:5]
	v_add_f64 v[4:5], v[16:17], -v[4:5]
	v_add_f64 v[36:37], v[18:19], -v[16:17]
	;; [unrolled: 1-line block ×4, first 2 shown]
	v_fma_f64 v[26:27], v[6:7], -0.5, v[142:143]
	v_add_f64 v[36:37], v[36:37], v[38:39]
	v_fma_f64 v[6:7], v[34:35], s[14:15], v[26:27]
	v_fma_f64 v[26:27], v[34:35], s[12:13], v[26:27]
	v_add_f64 v[34:35], v[14:15], -v[12:13]
	v_fma_f64 v[6:7], v[24:25], s[4:5], v[6:7]
	v_fma_f64 v[24:25], v[24:25], s[16:17], v[26:27]
	v_add_f64 v[26:27], v[10:11], v[12:13]
	v_add_f64 v[20:21], v[20:21], v[34:35]
	v_fma_f64 v[6:7], v[36:37], s[2:3], v[6:7]
	v_fma_f64 v[36:37], v[36:37], s[2:3], v[24:25]
	v_fma_f64 v[26:27], v[26:27], -0.5, v[144:145]
	v_add_f64 v[24:25], v[144:145], v[8:9]
	v_fma_f64 v[16:17], v[4:5], s[14:15], v[26:27]
	v_add_f64 v[24:25], v[24:25], v[10:11]
	v_fma_f64 v[16:17], v[18:19], s[16:17], v[16:17]
	;; [unrolled: 2-line block ×3, first 2 shown]
	v_fma_f64 v[16:17], v[4:5], s[12:13], v[26:27]
	v_add_f64 v[24:25], v[24:25], v[14:15]
	v_fma_f64 v[16:17], v[18:19], s[4:5], v[16:17]
	v_fma_f64 v[142:143], v[20:21], s[2:3], v[16:17]
	v_add_f64 v[16:17], v[8:9], v[14:15]
	v_add_f64 v[8:9], v[10:11], -v[8:9]
	v_add_f64 v[10:11], v[12:13], -v[14:15]
	v_fma_f64 v[16:17], v[16:17], -0.5, v[144:145]
	v_add_f64 v[10:11], v[8:9], v[10:11]
	v_fma_f64 v[20:21], v[18:19], s[12:13], v[16:17]
	v_fma_f64 v[12:13], v[18:19], s[14:15], v[16:17]
	;; [unrolled: 1-line block ×6, first 2 shown]
	buffer_load_dword v4, off, s[24:27], 0 offset:992 ; 4-byte Folded Reload
	s_waitcnt vmcnt(0)
	ds_write_b128 v4, v[150:153]
	ds_write_b128 v4, v[158:161] offset:480
	ds_write_b128 v4, v[176:179] offset:960
	ds_write_b128 v4, v[172:175] offset:1440
	ds_write_b128 v4, v[154:157] offset:1920
	buffer_load_dword v4, off, s[24:27], 0 offset:996 ; 4-byte Folded Reload
	s_waitcnt vmcnt(0)
	ds_write_b128 v4, v[184:187]
	ds_write_b128 v4, v[188:191] offset:480
	ds_write_b128 v4, v[196:199] offset:960
	ds_write_b128 v4, v[192:195] offset:1440
	ds_write_b128 v4, v[0:3] offset:1920
	;; [unrolled: 7-line block ×5, first 2 shown]
	s_waitcnt lgkmcnt(0)
	s_barrier
	ds_read_b128 v[176:179], v164
	ds_read_b128 v[240:243], v164 offset:12000
	ds_read_b128 v[236:239], v164 offset:24000
	;; [unrolled: 1-line block ×23, first 2 shown]
	s_and_saveexec_b64 s[2:3], s[0:1]
	s_cbranch_execz .LBB0_27
; %bb.26:
	ds_read_b128 v[100:103], v164 offset:23520
	ds_read_b128 v[140:143], v164 offset:11520
	;; [unrolled: 1-line block ×3, first 2 shown]
.LBB0_27:
	s_or_b64 exec, exec, s[2:3]
	buffer_load_dword v6, off, s[24:27], 0 offset:1028 ; 4-byte Folded Reload
	buffer_load_dword v7, off, s[24:27], 0 offset:1032 ; 4-byte Folded Reload
	;; [unrolled: 1-line block ×4, first 2 shown]
	s_mov_b32 s2, 0xe8584caa
	s_mov_b32 s3, 0xbfebb67a
	;; [unrolled: 1-line block ×4, first 2 shown]
	s_waitcnt vmcnt(0) lgkmcnt(14)
	v_mul_f64 v[4:5], v[8:9], v[242:243]
	v_fma_f64 v[10:11], v[6:7], v[240:241], v[4:5]
	v_mul_f64 v[4:5], v[8:9], v[240:241]
	v_fma_f64 v[14:15], v[6:7], v[242:243], -v[4:5]
	buffer_load_dword v6, off, s[24:27], 0 offset:1012 ; 4-byte Folded Reload
	buffer_load_dword v7, off, s[24:27], 0 offset:1016 ; 4-byte Folded Reload
	buffer_load_dword v8, off, s[24:27], 0 offset:1020 ; 4-byte Folded Reload
	buffer_load_dword v9, off, s[24:27], 0 offset:1024 ; 4-byte Folded Reload
	s_waitcnt vmcnt(0)
	v_mul_f64 v[4:5], v[8:9], v[238:239]
	v_fma_f64 v[16:17], v[6:7], v[236:237], v[4:5]
	v_mul_f64 v[4:5], v[8:9], v[236:237]
	v_fma_f64 v[18:19], v[6:7], v[238:239], -v[4:5]
	buffer_load_dword v6, off, s[24:27], 0 offset:1076 ; 4-byte Folded Reload
	buffer_load_dword v7, off, s[24:27], 0 offset:1080 ; 4-byte Folded Reload
	buffer_load_dword v8, off, s[24:27], 0 offset:1084 ; 4-byte Folded Reload
	buffer_load_dword v9, off, s[24:27], 0 offset:1088 ; 4-byte Folded Reload
	s_waitcnt vmcnt(0)
	;; [unrolled: 9-line block ×3, first 2 shown]
	v_mul_f64 v[4:5], v[8:9], v[230:231]
	v_fma_f64 v[46:47], v[6:7], v[228:229], v[4:5]
	v_mul_f64 v[4:5], v[8:9], v[228:229]
	v_fma_f64 v[50:51], v[6:7], v[230:231], -v[4:5]
	buffer_load_dword v6, off, s[24:27], 0 offset:1092 ; 4-byte Folded Reload
	buffer_load_dword v7, off, s[24:27], 0 offset:1096 ; 4-byte Folded Reload
	buffer_load_dword v8, off, s[24:27], 0 offset:1100 ; 4-byte Folded Reload
	buffer_load_dword v9, off, s[24:27], 0 offset:1104 ; 4-byte Folded Reload
	v_add_f64 v[20:21], v[26:27], -v[50:51]
	s_waitcnt vmcnt(0)
	v_mul_f64 v[4:5], v[8:9], v[226:227]
	v_fma_f64 v[56:57], v[6:7], v[224:225], v[4:5]
	v_mul_f64 v[4:5], v[8:9], v[224:225]
	v_fma_f64 v[58:59], v[6:7], v[226:227], -v[4:5]
	buffer_load_dword v6, off, s[24:27], 0 offset:1060 ; 4-byte Folded Reload
	buffer_load_dword v7, off, s[24:27], 0 offset:1064 ; 4-byte Folded Reload
	;; [unrolled: 1-line block ×4, first 2 shown]
	s_waitcnt vmcnt(0)
	v_mul_f64 v[4:5], v[8:9], v[222:223]
	v_fma_f64 v[165:166], v[6:7], v[220:221], v[4:5]
	v_mul_f64 v[4:5], v[8:9], v[220:221]
	v_fma_f64 v[220:221], v[6:7], v[222:223], -v[4:5]
	buffer_load_dword v6, off, s[24:27], 0 offset:1124 ; 4-byte Folded Reload
	buffer_load_dword v7, off, s[24:27], 0 offset:1128 ; 4-byte Folded Reload
	;; [unrolled: 1-line block ×4, first 2 shown]
	v_add_f64 v[52:53], v[58:59], -v[220:221]
	s_waitcnt vmcnt(0) lgkmcnt(13)
	v_mul_f64 v[4:5], v[8:9], v[218:219]
	v_fma_f64 v[222:223], v[6:7], v[216:217], v[4:5]
	v_mul_f64 v[4:5], v[8:9], v[216:217]
	v_fma_f64 v[216:217], v[6:7], v[218:219], -v[4:5]
	buffer_load_dword v6, off, s[24:27], 0 offset:1108 ; 4-byte Folded Reload
	buffer_load_dword v7, off, s[24:27], 0 offset:1112 ; 4-byte Folded Reload
	buffer_load_dword v8, off, s[24:27], 0 offset:1116 ; 4-byte Folded Reload
	buffer_load_dword v9, off, s[24:27], 0 offset:1120 ; 4-byte Folded Reload
	s_waitcnt vmcnt(0) lgkmcnt(12)
	v_mul_f64 v[4:5], v[8:9], v[214:215]
	v_fma_f64 v[218:219], v[6:7], v[212:213], v[4:5]
	v_mul_f64 v[4:5], v[8:9], v[212:213]
	v_fma_f64 v[212:213], v[6:7], v[214:215], -v[4:5]
	buffer_load_dword v6, off, s[24:27], 0 offset:1156 ; 4-byte Folded Reload
	buffer_load_dword v7, off, s[24:27], 0 offset:1160 ; 4-byte Folded Reload
	buffer_load_dword v8, off, s[24:27], 0 offset:1164 ; 4-byte Folded Reload
	buffer_load_dword v9, off, s[24:27], 0 offset:1168 ; 4-byte Folded Reload
	;; [unrolled: 9-line block ×9, first 2 shown]
	s_waitcnt vmcnt(0) lgkmcnt(0)
	s_barrier
	v_mul_f64 v[4:5], v[8:9], v[182:183]
	v_fma_f64 v[34:35], v[6:7], v[180:181], v[4:5]
	v_mul_f64 v[4:5], v[8:9], v[180:181]
	v_add_f64 v[8:9], v[14:15], -v[18:19]
	v_fma_f64 v[38:39], v[6:7], v[182:183], -v[4:5]
	v_add_f64 v[6:7], v[10:11], v[16:17]
	v_add_f64 v[4:5], v[176:177], v[10:11]
	v_add_f64 v[10:11], v[10:11], -v[16:17]
	v_fma_f64 v[6:7], v[6:7], -0.5, v[176:177]
	v_add_f64 v[4:5], v[4:5], v[16:17]
	v_add_f64 v[16:17], v[172:173], v[22:23]
	v_fma_f64 v[12:13], v[8:9], s[2:3], v[6:7]
	v_fma_f64 v[8:9], v[8:9], s[4:5], v[6:7]
	v_add_f64 v[6:7], v[178:179], v[14:15]
	v_add_f64 v[14:15], v[14:15], v[18:19]
	;; [unrolled: 1-line block ×4, first 2 shown]
	v_fma_f64 v[18:19], v[14:15], -0.5, v[178:179]
	v_fma_f64 v[14:15], v[10:11], s[4:5], v[18:19]
	v_fma_f64 v[10:11], v[10:11], s[2:3], v[18:19]
	ds_write_b128 v164, v[4:7]
	ds_write_b128 v164, v[12:15] offset:2400
	ds_write_b128 v164, v[8:11] offset:4800
	buffer_load_dword v4, off, s[24:27], 0 offset:1272 ; 4-byte Folded Reload
	v_add_f64 v[18:19], v[22:23], v[46:47]
	v_add_f64 v[22:23], v[22:23], -v[46:47]
	v_add_f64 v[46:47], v[160:161], v[56:57]
	v_fma_f64 v[18:19], v[18:19], -0.5, v[172:173]
	v_fma_f64 v[24:25], v[20:21], s[2:3], v[18:19]
	v_fma_f64 v[20:21], v[20:21], s[4:5], v[18:19]
	v_add_f64 v[18:19], v[174:175], v[26:27]
	v_add_f64 v[26:27], v[26:27], v[50:51]
	;; [unrolled: 1-line block ×3, first 2 shown]
	v_fma_f64 v[50:51], v[26:27], -0.5, v[174:175]
	v_fma_f64 v[26:27], v[22:23], s[4:5], v[50:51]
	v_fma_f64 v[22:23], v[22:23], s[2:3], v[50:51]
	v_add_f64 v[50:51], v[46:47], v[165:166]
	v_add_f64 v[46:47], v[56:57], v[165:166]
	v_fma_f64 v[46:47], v[46:47], -0.5, v[160:161]
	v_fma_f64 v[54:55], v[52:53], s[2:3], v[46:47]
	v_fma_f64 v[160:161], v[52:53], s[4:5], v[46:47]
	v_add_f64 v[46:47], v[162:163], v[58:59]
	v_add_f64 v[52:53], v[46:47], v[220:221]
	;; [unrolled: 1-line block ×3, first 2 shown]
	v_add_f64 v[58:59], v[56:57], -v[165:166]
	v_fma_f64 v[46:47], v[46:47], -0.5, v[162:163]
	v_fma_f64 v[56:57], v[58:59], s[4:5], v[46:47]
	v_fma_f64 v[162:163], v[58:59], s[2:3], v[46:47]
	s_waitcnt vmcnt(0)
	ds_write_b128 v4, v[16:19]
	ds_write_b128 v4, v[24:27] offset:2400
	ds_write_b128 v4, v[20:23] offset:4800
	ds_write_b128 v164, v[50:53] offset:7680
	ds_write_b128 v164, v[54:57] offset:10080
	ds_write_b128 v164, v[160:163] offset:12480
	buffer_load_dword v4, off, s[24:27], 0 offset:1276 ; 4-byte Folded Reload
	v_add_f64 v[46:47], v[156:157], v[222:223]
	v_add_f64 v[58:59], v[216:217], -v[212:213]
	v_add_f64 v[172:173], v[46:47], v[218:219]
	v_add_f64 v[46:47], v[222:223], v[218:219]
	v_fma_f64 v[46:47], v[46:47], -0.5, v[156:157]
	v_fma_f64 v[156:157], v[58:59], s[2:3], v[46:47]
	v_fma_f64 v[176:177], v[58:59], s[4:5], v[46:47]
	v_add_f64 v[46:47], v[158:159], v[216:217]
	v_add_f64 v[58:59], v[222:223], -v[218:219]
	v_add_f64 v[174:175], v[46:47], v[212:213]
	v_add_f64 v[46:47], v[216:217], v[212:213]
	v_fma_f64 v[46:47], v[46:47], -0.5, v[158:159]
	v_fma_f64 v[158:159], v[58:59], s[4:5], v[46:47]
	v_fma_f64 v[178:179], v[58:59], s[2:3], v[46:47]
	s_waitcnt vmcnt(0)
	ds_write_b128 v4, v[172:175]
	ds_write_b128 v4, v[156:159] offset:2400
	ds_write_b128 v4, v[176:179] offset:4800
	buffer_load_dword v4, off, s[24:27], 0 offset:1280 ; 4-byte Folded Reload
	v_add_f64 v[46:47], v[152:153], v[214:215]
	v_add_f64 v[58:59], v[208:209], -v[204:205]
	v_add_f64 v[180:181], v[46:47], v[210:211]
	v_add_f64 v[46:47], v[214:215], v[210:211]
	v_fma_f64 v[46:47], v[46:47], -0.5, v[152:153]
	v_fma_f64 v[152:153], v[58:59], s[2:3], v[46:47]
	v_fma_f64 v[184:185], v[58:59], s[4:5], v[46:47]
	v_add_f64 v[46:47], v[154:155], v[208:209]
	v_add_f64 v[58:59], v[214:215], -v[210:211]
	v_add_f64 v[182:183], v[46:47], v[204:205]
	v_add_f64 v[46:47], v[208:209], v[204:205]
	v_fma_f64 v[46:47], v[46:47], -0.5, v[154:155]
	v_fma_f64 v[154:155], v[58:59], s[4:5], v[46:47]
	v_fma_f64 v[186:187], v[58:59], s[2:3], v[46:47]
	s_waitcnt vmcnt(0)
	ds_write_b128 v4, v[180:183] offset:14400
	ds_write_b128 v4, v[152:155] offset:16800
	ds_write_b128 v4, v[184:187] offset:19200
	buffer_load_dword v4, off, s[24:27], 0 offset:1284 ; 4-byte Folded Reload
	v_add_f64 v[46:47], v[148:149], v[206:207]
	v_add_f64 v[58:59], v[200:201], -v[196:197]
	v_add_f64 v[188:189], v[46:47], v[202:203]
	v_add_f64 v[46:47], v[206:207], v[202:203]
	v_fma_f64 v[46:47], v[46:47], -0.5, v[148:149]
	v_fma_f64 v[148:149], v[58:59], s[2:3], v[46:47]
	v_fma_f64 v[192:193], v[58:59], s[4:5], v[46:47]
	v_add_f64 v[46:47], v[150:151], v[200:201]
	v_add_f64 v[58:59], v[206:207], -v[202:203]
	v_add_f64 v[190:191], v[46:47], v[196:197]
	v_add_f64 v[46:47], v[200:201], v[196:197]
	v_fma_f64 v[46:47], v[46:47], -0.5, v[150:151]
	v_fma_f64 v[150:151], v[58:59], s[4:5], v[46:47]
	v_fma_f64 v[194:195], v[58:59], s[2:3], v[46:47]
	s_waitcnt vmcnt(0)
	ds_write_b128 v4, v[188:191] offset:21600
	ds_write_b128 v4, v[148:151] offset:24000
	;; [unrolled: 1-line block ×3, first 2 shown]
	buffer_load_dword v4, off, s[24:27], 0 offset:1288 ; 4-byte Folded Reload
	v_add_f64 v[46:47], v[144:145], v[40:41]
	v_add_f64 v[196:197], v[46:47], v[48:49]
	v_add_f64 v[46:47], v[40:41], v[48:49]
	v_add_f64 v[40:41], v[40:41], -v[48:49]
	v_fma_f64 v[58:59], v[46:47], -0.5, v[144:145]
	v_add_f64 v[144:145], v[42:43], -v[44:45]
	v_fma_f64 v[46:47], v[144:145], s[2:3], v[58:59]
	v_fma_f64 v[144:145], v[144:145], s[4:5], v[58:59]
	v_add_f64 v[58:59], v[146:147], v[42:43]
	v_add_f64 v[42:43], v[42:43], v[44:45]
	;; [unrolled: 1-line block ×3, first 2 shown]
	v_fma_f64 v[42:43], v[42:43], -0.5, v[146:147]
	v_add_f64 v[44:45], v[36:37], -v[38:39]
	v_fma_f64 v[48:49], v[40:41], s[4:5], v[42:43]
	v_fma_f64 v[146:147], v[40:41], s[2:3], v[42:43]
	s_waitcnt vmcnt(0)
	ds_write_b128 v4, v[196:199]
	ds_write_b128 v4, v[46:49] offset:2400
	ds_write_b128 v4, v[144:147] offset:4800
	buffer_load_dword v4, off, s[24:27], 0 offset:1292 ; 4-byte Folded Reload
	v_add_f64 v[42:43], v[32:33], v[34:35]
	v_add_f64 v[40:41], v[0:1], v[32:33]
	v_add_f64 v[32:33], v[32:33], -v[34:35]
	v_fma_f64 v[42:43], v[42:43], -0.5, v[0:1]
	v_add_f64 v[40:41], v[40:41], v[34:35]
	v_fma_f64 v[0:1], v[44:45], s[2:3], v[42:43]
	v_fma_f64 v[200:201], v[44:45], s[4:5], v[42:43]
	v_add_f64 v[42:43], v[2:3], v[36:37]
	v_add_f64 v[36:37], v[36:37], v[38:39]
	;; [unrolled: 1-line block ×3, first 2 shown]
	v_fma_f64 v[36:37], v[36:37], -0.5, v[2:3]
	v_fma_f64 v[2:3], v[32:33], s[4:5], v[36:37]
	v_fma_f64 v[202:203], v[32:33], s[2:3], v[36:37]
	s_waitcnt vmcnt(0)
	ds_write_b128 v4, v[40:43] offset:28800
	ds_write_b128 v4, v[0:3] offset:31200
	;; [unrolled: 1-line block ×3, first 2 shown]
	s_and_saveexec_b64 s[12:13], s[0:1]
	s_cbranch_execz .LBB0_29
; %bb.28:
	buffer_load_dword v12, off, s[24:27], 0 offset:1316 ; 4-byte Folded Reload
	buffer_load_dword v13, off, s[24:27], 0 offset:1320 ; 4-byte Folded Reload
	buffer_load_dword v14, off, s[24:27], 0 offset:1324 ; 4-byte Folded Reload
	buffer_load_dword v15, off, s[24:27], 0 offset:1328 ; 4-byte Folded Reload
	buffer_load_dword v8, off, s[24:27], 0 offset:1300 ; 4-byte Folded Reload
	buffer_load_dword v9, off, s[24:27], 0 offset:1304 ; 4-byte Folded Reload
	buffer_load_dword v10, off, s[24:27], 0 offset:1308 ; 4-byte Folded Reload
	buffer_load_dword v11, off, s[24:27], 0 offset:1312 ; 4-byte Folded Reload
	s_waitcnt vmcnt(4)
	v_mul_f64 v[0:1], v[14:15], v[100:101]
	s_waitcnt vmcnt(0)
	v_mul_f64 v[2:3], v[10:11], v[136:137]
	v_mul_f64 v[4:5], v[14:15], v[102:103]
	;; [unrolled: 1-line block ×3, first 2 shown]
	v_fma_f64 v[0:1], v[12:13], v[102:103], -v[0:1]
	v_fma_f64 v[2:3], v[8:9], v[138:139], -v[2:3]
	v_fma_f64 v[4:5], v[12:13], v[100:101], v[4:5]
	v_fma_f64 v[6:7], v[8:9], v[136:137], v[6:7]
	v_add_f64 v[14:15], v[142:143], v[0:1]
	v_add_f64 v[8:9], v[0:1], v[2:3]
	v_add_f64 v[16:17], v[0:1], -v[2:3]
	v_add_f64 v[10:11], v[4:5], v[6:7]
	v_add_f64 v[12:13], v[4:5], -v[6:7]
	v_add_f64 v[4:5], v[140:141], v[4:5]
	v_add_f64 v[2:3], v[14:15], v[2:3]
	v_fma_f64 v[8:9], v[8:9], -0.5, v[142:143]
	v_fma_f64 v[18:19], v[10:11], -0.5, v[140:141]
	v_add_f64 v[0:1], v[4:5], v[6:7]
	v_fma_f64 v[6:7], v[12:13], s[2:3], v[8:9]
	v_fma_f64 v[10:11], v[12:13], s[4:5], v[8:9]
	buffer_load_dword v12, off, s[24:27], 0 offset:1268 ; 4-byte Folded Reload
	v_fma_f64 v[8:9], v[16:17], s[2:3], v[18:19]
	v_fma_f64 v[4:5], v[16:17], s[4:5], v[18:19]
	s_waitcnt vmcnt(0)
	ds_write_b128 v12, v[0:3] offset:28800
	ds_write_b128 v12, v[8:11] offset:31200
	ds_write_b128 v12, v[4:7] offset:33600
.LBB0_29:
	s_or_b64 exec, exec, s[12:13]
	buffer_load_dword v172, off, s[24:27], 0 offset:12 ; 4-byte Folded Reload
	buffer_load_dword v173, off, s[24:27], 0 offset:16 ; 4-byte Folded Reload
	s_waitcnt vmcnt(0) lgkmcnt(0)
	s_barrier
	ds_read_b128 v[8:11], v164 offset:7200
	ds_read_b128 v[16:19], v164 offset:21600
	ds_read_b128 v[20:23], v164
	ds_read_b128 v[12:15], v164 offset:1440
	ds_read_b128 v[24:27], v164 offset:14400
	ds_read_b128 v[34:37], v164 offset:15840
	ds_read_b128 v[38:41], v164 offset:28800
	ds_read_b128 v[42:45], v164 offset:30240
	ds_read_b128 v[46:49], v164 offset:8640
	ds_read_b128 v[50:53], v164 offset:10080
	ds_read_b128 v[54:57], v164 offset:23040
	ds_read_b128 v[100:103], v164 offset:24480
	ds_read_b128 v[136:139], v164 offset:31680
	ds_read_b128 v[0:3], v164 offset:5760
	s_waitcnt lgkmcnt(13)
	v_mul_f64 v[58:59], v[70:71], v[10:11]
	v_mul_f64 v[70:71], v[70:71], v[8:9]
	s_waitcnt lgkmcnt(9)
	v_mul_f64 v[156:157], v[74:75], v[26:27]
	v_mul_f64 v[74:75], v[74:75], v[24:25]
	s_waitcnt lgkmcnt(5)
	v_mul_f64 v[160:161], v[170:171], v[46:47]
	ds_read_b128 v[140:143], v164 offset:2880
	ds_read_b128 v[4:7], v164 offset:4320
	;; [unrolled: 1-line block ×5, first 2 shown]
	s_mov_b32 s2, 0x4755a5e
	v_fma_f64 v[158:159], v[68:69], v[8:9], v[58:59]
	v_mul_f64 v[58:59], v[66:67], v[18:19]
	v_mul_f64 v[66:67], v[66:67], v[16:17]
	v_fma_f64 v[68:69], v[68:69], v[10:11], -v[70:71]
	v_fma_f64 v[70:71], v[72:73], v[24:25], v[156:157]
	v_fma_f64 v[72:73], v[72:73], v[26:27], -v[74:75]
	v_mul_f64 v[74:75], v[62:63], v[40:41]
	v_mul_f64 v[62:63], v[62:63], v[38:39]
	v_fma_f64 v[160:161], v[168:169], v[48:49], -v[160:161]
	v_fma_f64 v[156:157], v[64:65], v[16:17], v[58:59]
	v_fma_f64 v[66:67], v[64:65], v[18:19], -v[66:67]
	v_mul_f64 v[64:65], v[170:171], v[48:49]
	v_mul_f64 v[48:49], v[78:79], v[42:43]
	ds_read_b128 v[8:11], v164 offset:11520
	ds_read_b128 v[24:27], v164 offset:12960
	v_fma_f64 v[74:75], v[60:61], v[38:39], v[74:75]
	v_fma_f64 v[162:163], v[60:61], v[40:41], -v[62:63]
	v_mul_f64 v[38:39], v[82:83], v[36:37]
	v_mul_f64 v[40:41], v[82:83], v[34:35]
	ds_read_b128 v[16:19], v164 offset:25920
	ds_read_b128 v[58:61], v164 offset:27360
	v_fma_f64 v[82:83], v[168:169], v[46:47], v[64:65]
	s_waitcnt lgkmcnt(12)
	v_mul_f64 v[46:47], v[30:31], v[56:57]
	v_mul_f64 v[30:31], v[30:31], v[54:55]
	s_mov_b32 s3, 0xbfe2cf23
	s_mov_b32 s5, 0x3fee6f0e
	v_fma_f64 v[165:166], v[80:81], v[34:35], v[38:39]
	v_mul_f64 v[38:39], v[78:79], v[44:45]
	v_fma_f64 v[78:79], v[80:81], v[36:37], -v[40:41]
	s_waitcnt lgkmcnt(6)
	v_mul_f64 v[40:41], v[98:99], v[144:145]
	v_fma_f64 v[80:81], v[28:29], v[54:55], v[46:47]
	v_fma_f64 v[167:168], v[28:29], v[56:57], -v[30:31]
	v_mul_f64 v[28:29], v[90:91], v[52:53]
	v_mul_f64 v[30:31], v[90:91], v[50:51]
	ds_read_b128 v[34:37], v164 offset:33120
	ds_read_b128 v[62:65], v164 offset:34560
	v_fma_f64 v[169:170], v[76:77], v[42:43], v[38:39]
	v_fma_f64 v[76:77], v[76:77], v[44:45], -v[48:49]
	v_mul_f64 v[38:39], v[98:99], v[146:147]
	v_mul_f64 v[42:43], v[94:95], v[102:103]
	;; [unrolled: 1-line block ×3, first 2 shown]
	v_fma_f64 v[90:91], v[88:89], v[50:51], v[28:29]
	v_mul_f64 v[28:29], v[86:87], v[138:139]
	v_fma_f64 v[88:89], v[88:89], v[52:53], -v[30:31]
	s_waitcnt lgkmcnt(5)
	v_mul_f64 v[30:31], v[106:107], v[10:11]
	v_mul_f64 v[46:47], v[86:87], v[136:137]
	v_fma_f64 v[86:87], v[96:97], v[144:145], v[38:39]
	v_fma_f64 v[94:95], v[96:97], v[146:147], -v[40:41]
	v_fma_f64 v[96:97], v[92:93], v[100:101], v[42:43]
	v_fma_f64 v[92:93], v[92:93], v[102:103], -v[44:45]
	v_fma_f64 v[98:99], v[84:85], v[136:137], v[28:29]
	v_mul_f64 v[28:29], v[106:107], v[8:9]
	s_waitcnt lgkmcnt(3)
	v_mul_f64 v[42:43], v[114:115], v[18:19]
	v_mul_f64 v[44:45], v[114:115], v[16:17]
	v_fma_f64 v[100:101], v[104:105], v[8:9], v[30:31]
	s_waitcnt lgkmcnt(1)
	v_mul_f64 v[8:9], v[110:111], v[36:37]
	v_mul_f64 v[30:31], v[110:111], v[34:35]
	;; [unrolled: 1-line block ×4, first 2 shown]
	v_fma_f64 v[48:49], v[104:105], v[10:11], -v[28:29]
	v_fma_f64 v[104:105], v[112:113], v[16:17], v[42:43]
	v_fma_f64 v[52:53], v[112:113], v[18:19], -v[44:45]
	v_mul_f64 v[10:11], v[130:131], v[26:27]
	v_fma_f64 v[106:107], v[108:109], v[34:35], v[8:9]
	v_fma_f64 v[54:55], v[108:109], v[36:37], -v[30:31]
	v_mul_f64 v[8:9], v[130:131], v[24:25]
	v_mul_f64 v[16:17], v[134:135], v[154:155]
	v_add_f64 v[18:19], v[20:21], v[158:159]
	v_add_f64 v[30:31], v[70:71], v[156:157]
	v_fma_f64 v[50:51], v[116:117], v[150:151], -v[40:41]
	v_mul_f64 v[28:29], v[134:135], v[152:153]
	v_fma_f64 v[40:41], v[128:129], v[24:25], v[10:11]
	v_mul_f64 v[10:11], v[126:127], v[60:61]
	v_mul_f64 v[24:25], v[126:127], v[58:59]
	v_fma_f64 v[36:37], v[128:129], v[26:27], -v[8:9]
	v_fma_f64 v[42:43], v[132:133], v[152:153], v[16:17]
	v_add_f64 v[8:9], v[18:19], v[70:71]
	v_fma_f64 v[16:17], v[30:31], -0.5, v[20:21]
	v_add_f64 v[18:19], v[68:69], -v[162:163]
	v_mad_u64_u32 v[32:33], s[0:1], s10, v172, 0
	s_mov_b32 s0, 0x134454ff
	s_mov_b32 s1, 0xbfee6f0e
	v_fma_f64 v[102:103], v[116:117], v[148:149], v[38:39]
	v_fma_f64 v[38:39], v[132:133], v[154:155], -v[28:29]
	v_fma_f64 v[44:45], v[124:125], v[58:59], v[10:11]
	v_fma_f64 v[34:35], v[124:125], v[60:61], -v[24:25]
	s_waitcnt lgkmcnt(0)
	v_mul_f64 v[10:11], v[122:123], v[64:65]
	v_mul_f64 v[24:25], v[122:123], v[62:63]
	v_fma_f64 v[26:27], v[18:19], s[0:1], v[16:17]
	v_add_f64 v[28:29], v[72:73], -v[66:67]
	v_add_f64 v[30:31], v[158:159], v[74:75]
	v_add_f64 v[58:59], v[158:159], -v[70:71]
	v_add_f64 v[60:61], v[74:75], -v[156:157]
	v_fma_f64 v[84:85], v[84:85], v[138:139], -v[46:47]
	v_fma_f64 v[56:57], v[120:121], v[62:63], v[10:11]
	v_fma_f64 v[46:47], v[120:121], v[64:65], -v[24:25]
	s_mov_b32 s4, s0
	v_fma_f64 v[16:17], v[18:19], s[4:5], v[16:17]
	v_fma_f64 v[10:11], v[30:31], -0.5, v[20:21]
	v_fma_f64 v[20:21], v[28:29], s[2:3], v[26:27]
	v_add_f64 v[24:25], v[58:59], v[60:61]
	v_add_f64 v[26:27], v[72:73], v[66:67]
	v_add_f64 v[58:59], v[70:71], -v[158:159]
	v_add_f64 v[60:61], v[156:157], -v[74:75]
	v_add_f64 v[62:63], v[22:23], v[68:69]
	v_add_f64 v[64:65], v[158:159], -v[74:75]
	v_fma_f64 v[30:31], v[28:29], s[4:5], v[10:11]
	v_fma_f64 v[10:11], v[28:29], s[0:1], v[10:11]
	s_mov_b32 s13, 0x3fe2cf23
	v_fma_f64 v[26:27], v[26:27], -0.5, v[22:23]
	s_mov_b32 s12, s2
	v_add_f64 v[58:59], v[58:59], v[60:61]
	v_add_f64 v[60:61], v[68:69], v[162:163]
	v_fma_f64 v[16:17], v[28:29], s[12:13], v[16:17]
	v_fma_f64 v[30:31], v[18:19], s[2:3], v[30:31]
	;; [unrolled: 1-line block ×3, first 2 shown]
	v_add_f64 v[18:19], v[62:63], v[72:73]
	v_fma_f64 v[62:63], v[64:65], s[4:5], v[26:27]
	v_add_f64 v[70:71], v[70:71], -v[156:157]
	s_mov_b32 s14, 0x372fe950
	v_fma_f64 v[22:23], v[60:61], -0.5, v[22:23]
	s_mov_b32 s15, 0x3fd3c6ef
	v_add_f64 v[8:9], v[8:9], v[156:157]
	v_fma_f64 v[28:29], v[24:25], s[14:15], v[20:21]
	v_fma_f64 v[16:17], v[24:25], s[14:15], v[16:17]
	;; [unrolled: 1-line block ×4, first 2 shown]
	v_add_f64 v[10:11], v[18:19], v[66:67]
	v_fma_f64 v[18:19], v[70:71], s[12:13], v[62:63]
	v_add_f64 v[58:59], v[165:166], v[80:81]
	v_fma_f64 v[62:63], v[70:71], s[0:1], v[22:23]
	v_fma_f64 v[22:23], v[70:71], s[4:5], v[22:23]
	v_add_f64 v[8:9], v[8:9], v[74:75]
	v_add_f64 v[30:31], v[68:69], -v[72:73]
	v_add_f64 v[60:61], v[162:163], -v[66:67]
	v_fma_f64 v[26:27], v[64:65], s[0:1], v[26:27]
	v_add_f64 v[68:69], v[72:73], -v[68:69]
	v_add_f64 v[66:67], v[66:67], -v[162:163]
	v_add_f64 v[72:73], v[12:13], v[82:83]
	v_fma_f64 v[58:59], v[58:59], -0.5, v[12:13]
	v_add_f64 v[74:75], v[160:161], -v[76:77]
	v_fma_f64 v[62:63], v[64:65], s[12:13], v[62:63]
	v_fma_f64 v[22:23], v[64:65], s[2:3], v[22:23]
	v_add_f64 v[64:65], v[82:83], v[169:170]
	v_add_f64 v[60:61], v[30:31], v[60:61]
	v_fma_f64 v[26:27], v[70:71], s[2:3], v[26:27]
	v_add_f64 v[66:67], v[68:69], v[66:67]
	v_add_f64 v[68:69], v[72:73], v[165:166]
	v_fma_f64 v[70:71], v[74:75], s[0:1], v[58:59]
	v_add_f64 v[72:73], v[78:79], -v[167:168]
	v_fma_f64 v[58:59], v[74:75], s[4:5], v[58:59]
	v_fma_f64 v[12:13], v[64:65], -0.5, v[12:13]
	v_fma_f64 v[30:31], v[60:61], s[14:15], v[18:19]
	v_fma_f64 v[18:19], v[60:61], s[14:15], v[26:27]
	;; [unrolled: 1-line block ×4, first 2 shown]
	v_add_f64 v[60:61], v[68:69], v[80:81]
	v_fma_f64 v[62:63], v[72:73], s[2:3], v[70:71]
	v_add_f64 v[64:65], v[82:83], -v[165:166]
	v_add_f64 v[66:67], v[78:79], v[167:168]
	v_add_f64 v[68:69], v[169:170], -v[80:81]
	v_fma_f64 v[70:71], v[72:73], s[4:5], v[12:13]
	v_fma_f64 v[12:13], v[72:73], s[0:1], v[12:13]
	v_add_f64 v[108:109], v[165:166], -v[82:83]
	v_add_f64 v[110:111], v[80:81], -v[169:170]
	v_add_f64 v[112:113], v[14:15], v[160:161]
	v_add_f64 v[82:83], v[82:83], -v[169:170]
	v_fma_f64 v[114:115], v[66:67], -0.5, v[14:15]
	v_add_f64 v[64:65], v[64:65], v[68:69]
	v_fma_f64 v[66:67], v[72:73], s[12:13], v[58:59]
	v_fma_f64 v[68:69], v[74:75], s[2:3], v[70:71]
	;; [unrolled: 1-line block ×3, first 2 shown]
	v_add_f64 v[74:75], v[160:161], v[76:77]
	v_add_f64 v[70:71], v[108:109], v[110:111]
	;; [unrolled: 1-line block ×3, first 2 shown]
	v_fma_f64 v[110:111], v[82:83], s[4:5], v[114:115]
	v_add_f64 v[80:81], v[165:166], -v[80:81]
	v_add_f64 v[12:13], v[60:61], v[169:170]
	v_fma_f64 v[58:59], v[64:65], s[14:15], v[62:63]
	v_fma_f64 v[62:63], v[64:65], s[14:15], v[66:67]
	v_fma_f64 v[14:15], v[74:75], -0.5, v[14:15]
	v_fma_f64 v[66:67], v[70:71], s[14:15], v[68:69]
	v_fma_f64 v[70:71], v[70:71], s[14:15], v[72:73]
	v_add_f64 v[60:61], v[108:109], v[167:168]
	v_fma_f64 v[64:65], v[80:81], s[12:13], v[110:111]
	v_add_f64 v[68:69], v[160:161], -v[78:79]
	v_add_f64 v[72:73], v[86:87], v[96:97]
	v_add_f64 v[74:75], v[76:77], -v[167:168]
	v_fma_f64 v[108:109], v[82:83], s[0:1], v[114:115]
	v_fma_f64 v[110:111], v[80:81], s[0:1], v[14:15]
	v_add_f64 v[78:79], v[78:79], -v[160:161]
	v_add_f64 v[112:113], v[167:168], -v[76:77]
	v_fma_f64 v[14:15], v[80:81], s[4:5], v[14:15]
	v_add_f64 v[114:115], v[140:141], v[90:91]
	v_fma_f64 v[116:117], v[72:73], -0.5, v[140:141]
	v_add_f64 v[118:119], v[88:89], -v[84:85]
	v_add_f64 v[68:69], v[68:69], v[74:75]
	v_fma_f64 v[72:73], v[80:81], s[2:3], v[108:109]
	v_fma_f64 v[74:75], v[82:83], s[12:13], v[110:111]
	v_add_f64 v[78:79], v[78:79], v[112:113]
	v_add_f64 v[108:109], v[90:91], v[98:99]
	v_fma_f64 v[80:81], v[82:83], s[2:3], v[14:15]
	v_add_f64 v[82:83], v[114:115], v[86:87]
	v_fma_f64 v[110:111], v[118:119], s[0:1], v[116:117]
	v_add_f64 v[112:113], v[94:95], -v[92:93]
	v_add_f64 v[14:15], v[60:61], v[76:77]
	v_fma_f64 v[60:61], v[68:69], s[14:15], v[64:65]
	v_fma_f64 v[64:65], v[68:69], s[14:15], v[72:73]
	;; [unrolled: 1-line block ×3, first 2 shown]
	v_fma_f64 v[74:75], v[108:109], -0.5, v[140:141]
	v_fma_f64 v[72:73], v[78:79], s[14:15], v[80:81]
	v_add_f64 v[76:77], v[82:83], v[96:97]
	v_fma_f64 v[78:79], v[112:113], s[2:3], v[110:111]
	v_add_f64 v[80:81], v[90:91], -v[86:87]
	v_add_f64 v[82:83], v[142:143], v[88:89]
	v_add_f64 v[110:111], v[98:99], -v[96:97]
	v_fma_f64 v[114:115], v[118:119], s[4:5], v[116:117]
	v_fma_f64 v[116:117], v[112:113], s[4:5], v[74:75]
	v_add_f64 v[120:121], v[86:87], -v[90:91]
	v_add_f64 v[122:123], v[96:97], -v[98:99]
	v_fma_f64 v[74:75], v[112:113], s[0:1], v[74:75]
	v_add_f64 v[108:109], v[94:95], v[92:93]
	v_add_f64 v[82:83], v[82:83], v[94:95]
	v_add_f64 v[124:125], v[90:91], -v[98:99]
	v_add_f64 v[80:81], v[80:81], v[110:111]
	v_fma_f64 v[90:91], v[112:113], s[12:13], v[114:115]
	v_fma_f64 v[110:111], v[118:119], s[2:3], v[116:117]
	v_add_f64 v[112:113], v[120:121], v[122:123]
	v_fma_f64 v[114:115], v[118:119], s[12:13], v[74:75]
	v_add_f64 v[118:119], v[88:89], v[84:85]
	v_fma_f64 v[108:109], v[108:109], -0.5, v[142:143]
	v_add_f64 v[116:117], v[82:83], v[92:93]
	v_add_f64 v[96:97], v[86:87], -v[96:97]
	v_fma_f64 v[78:79], v[80:81], s[14:15], v[78:79]
	v_fma_f64 v[82:83], v[80:81], s[14:15], v[90:91]
	v_add_f64 v[74:75], v[76:77], v[98:99]
	v_fma_f64 v[90:91], v[112:113], s[14:15], v[114:115]
	v_fma_f64 v[80:81], v[118:119], -0.5, v[142:143]
	v_add_f64 v[114:115], v[4:5], v[100:101]
	v_fma_f64 v[120:121], v[124:125], s[4:5], v[108:109]
	v_fma_f64 v[86:87], v[112:113], s[14:15], v[110:111]
	v_add_f64 v[76:77], v[116:117], v[84:85]
	v_add_f64 v[110:111], v[88:89], -v[94:95]
	v_add_f64 v[112:113], v[84:85], -v[92:93]
	v_fma_f64 v[108:109], v[124:125], s[0:1], v[108:109]
	v_add_f64 v[116:117], v[102:103], v[104:105]
	v_fma_f64 v[118:119], v[96:97], s[0:1], v[80:81]
	v_add_f64 v[88:89], v[94:95], -v[88:89]
	v_add_f64 v[84:85], v[92:93], -v[84:85]
	v_fma_f64 v[80:81], v[96:97], s[4:5], v[80:81]
	v_add_f64 v[94:95], v[114:115], v[102:103]
	v_fma_f64 v[98:99], v[96:97], s[12:13], v[120:121]
	v_add_f64 v[92:93], v[110:111], v[112:113]
	v_fma_f64 v[96:97], v[96:97], s[2:3], v[108:109]
	v_fma_f64 v[108:109], v[116:117], -0.5, v[4:5]
	v_add_f64 v[110:111], v[48:49], -v[54:55]
	v_fma_f64 v[112:113], v[124:125], s[12:13], v[118:119]
	v_add_f64 v[114:115], v[88:89], v[84:85]
	v_fma_f64 v[116:117], v[124:125], s[2:3], v[80:81]
	v_add_f64 v[118:119], v[100:101], v[106:107]
	v_add_f64 v[94:95], v[94:95], v[104:105]
	v_fma_f64 v[80:81], v[92:93], s[14:15], v[98:99]
	v_fma_f64 v[84:85], v[92:93], s[14:15], v[96:97]
	;; [unrolled: 1-line block ×3, first 2 shown]
	v_add_f64 v[98:99], v[50:51], -v[52:53]
	v_fma_f64 v[88:89], v[114:115], s[14:15], v[112:113]
	v_fma_f64 v[92:93], v[114:115], s[14:15], v[116:117]
	v_fma_f64 v[112:113], v[118:119], -0.5, v[4:5]
	v_add_f64 v[4:5], v[94:95], v[106:107]
	v_add_f64 v[94:95], v[100:101], -v[102:103]
	v_add_f64 v[114:115], v[106:107], -v[104:105]
	v_fma_f64 v[108:109], v[110:111], s[4:5], v[108:109]
	v_fma_f64 v[96:97], v[98:99], s[2:3], v[96:97]
	v_add_f64 v[116:117], v[6:7], v[48:49]
	v_add_f64 v[118:119], v[50:51], v[52:53]
	v_fma_f64 v[120:121], v[98:99], s[4:5], v[112:113]
	v_add_f64 v[122:123], v[102:103], -v[100:101]
	v_add_f64 v[124:125], v[104:105], -v[106:107]
	v_add_f64 v[114:115], v[94:95], v[114:115]
	v_fma_f64 v[112:113], v[98:99], s[0:1], v[112:113]
	v_fma_f64 v[108:109], v[98:99], s[12:13], v[108:109]
	v_add_f64 v[116:117], v[116:117], v[50:51]
	v_fma_f64 v[118:119], v[118:119], -0.5, v[6:7]
	v_add_f64 v[100:101], v[100:101], -v[106:107]
	v_fma_f64 v[106:107], v[110:111], s[2:3], v[120:121]
	v_add_f64 v[120:121], v[122:123], v[124:125]
	v_fma_f64 v[94:95], v[114:115], s[14:15], v[96:97]
	v_fma_f64 v[96:97], v[110:111], s[12:13], v[112:113]
	v_add_f64 v[110:111], v[48:49], v[54:55]
	v_fma_f64 v[98:99], v[114:115], s[14:15], v[108:109]
	v_add_f64 v[108:109], v[116:117], v[52:53]
	v_fma_f64 v[112:113], v[100:101], s[4:5], v[118:119]
	v_add_f64 v[104:105], v[102:103], -v[104:105]
	v_fma_f64 v[102:103], v[120:121], s[14:15], v[106:107]
	v_add_f64 v[114:115], v[42:43], v[44:45]
	v_fma_f64 v[106:107], v[120:121], s[14:15], v[96:97]
	v_fma_f64 v[96:97], v[110:111], -0.5, v[6:7]
	v_add_f64 v[110:111], v[0:1], v[40:41]
	v_add_f64 v[116:117], v[48:49], -v[50:51]
	v_add_f64 v[122:123], v[54:55], -v[52:53]
	v_add_f64 v[6:7], v[108:109], v[54:55]
	v_fma_f64 v[108:109], v[104:105], s[12:13], v[112:113]
	v_fma_f64 v[112:113], v[114:115], -0.5, v[0:1]
	v_add_f64 v[114:115], v[36:37], -v[46:47]
	v_fma_f64 v[118:119], v[100:101], s[0:1], v[118:119]
	v_add_f64 v[48:49], v[50:51], -v[48:49]
	v_add_f64 v[50:51], v[52:53], -v[54:55]
	v_fma_f64 v[52:53], v[104:105], s[4:5], v[96:97]
	v_add_f64 v[54:55], v[110:111], v[42:43]
	v_add_f64 v[116:117], v[116:117], v[122:123]
	v_fma_f64 v[120:121], v[104:105], s[0:1], v[96:97]
	v_fma_f64 v[96:97], v[114:115], s[0:1], v[112:113]
	v_add_f64 v[110:111], v[38:39], -v[34:35]
	v_fma_f64 v[104:105], v[104:105], s[2:3], v[118:119]
	v_add_f64 v[48:49], v[48:49], v[50:51]
	v_fma_f64 v[50:51], v[100:101], s[2:3], v[52:53]
	v_add_f64 v[122:123], v[40:41], -v[42:43]
	v_add_f64 v[124:125], v[56:57], -v[44:45]
	v_add_f64 v[118:119], v[40:41], v[56:57]
	v_add_f64 v[52:53], v[54:55], v[44:45]
	v_fma_f64 v[120:121], v[100:101], s[12:13], v[120:121]
	v_fma_f64 v[54:55], v[110:111], s[2:3], v[96:97]
	;; [unrolled: 1-line block ×5, first 2 shown]
	v_add_f64 v[50:51], v[38:39], v[34:35]
	v_add_f64 v[116:117], v[36:37], v[46:47]
	;; [unrolled: 1-line block ×3, first 2 shown]
	v_fma_f64 v[118:119], v[118:119], -0.5, v[0:1]
	v_add_f64 v[0:1], v[52:53], v[56:57]
	v_fma_f64 v[52:53], v[114:115], s[4:5], v[112:113]
	v_add_f64 v[124:125], v[2:3], v[36:37]
	v_fma_f64 v[104:105], v[48:49], s[14:15], v[120:121]
	v_add_f64 v[112:113], v[42:43], -v[40:41]
	v_add_f64 v[120:121], v[44:45], -v[56:57]
	v_fma_f64 v[50:51], v[50:51], -0.5, v[2:3]
	v_add_f64 v[40:41], v[40:41], -v[56:57]
	v_add_f64 v[42:43], v[42:43], -v[44:45]
	v_fma_f64 v[2:3], v[116:117], -0.5, v[2:3]
	v_fma_f64 v[48:49], v[122:123], s[14:15], v[54:55]
	v_fma_f64 v[54:55], v[110:111], s[4:5], v[118:119]
	;; [unrolled: 1-line block ×4, first 2 shown]
	v_add_f64 v[110:111], v[124:125], v[38:39]
	v_add_f64 v[44:45], v[112:113], v[120:121]
	v_fma_f64 v[112:113], v[40:41], s[4:5], v[50:51]
	v_add_f64 v[116:117], v[36:37], -v[38:39]
	v_add_f64 v[118:119], v[46:47], -v[34:35]
	v_fma_f64 v[50:51], v[40:41], s[0:1], v[50:51]
	v_fma_f64 v[120:121], v[42:43], s[0:1], v[2:3]
	v_add_f64 v[36:37], v[38:39], -v[36:37]
	v_add_f64 v[38:39], v[34:35], -v[46:47]
	v_fma_f64 v[2:3], v[42:43], s[4:5], v[2:3]
	v_add_f64 v[110:111], v[110:111], v[34:35]
	v_add_f64 v[10:11], v[10:11], v[162:163]
	v_fma_f64 v[54:55], v[114:115], s[2:3], v[54:55]
	v_fma_f64 v[56:57], v[114:115], s[12:13], v[56:57]
	;; [unrolled: 1-line block ×3, first 2 shown]
	v_add_f64 v[114:115], v[116:117], v[118:119]
	v_fma_f64 v[116:117], v[42:43], s[2:3], v[50:51]
	v_fma_f64 v[118:119], v[40:41], s[12:13], v[120:121]
	v_add_f64 v[120:121], v[36:37], v[38:39]
	v_fma_f64 v[124:125], v[40:41], s[2:3], v[2:3]
	v_add_f64 v[2:3], v[110:111], v[46:47]
	v_fma_f64 v[34:35], v[122:123], s[14:15], v[52:53]
	v_fma_f64 v[38:39], v[44:45], s[14:15], v[54:55]
	v_fma_f64 v[42:43], v[44:45], s[14:15], v[56:57]
	v_fma_f64 v[50:51], v[114:115], s[14:15], v[112:113]
	v_fma_f64 v[36:37], v[114:115], s[14:15], v[116:117]
	v_fma_f64 v[40:41], v[120:121], s[14:15], v[118:119]
	v_fma_f64 v[44:45], v[120:121], s[14:15], v[124:125]
	ds_write_b128 v164, v[8:11]
	ds_write_b128 v164, v[28:31] offset:7200
	ds_write_b128 v164, v[24:27] offset:14400
	;; [unrolled: 1-line block ×24, first 2 shown]
	s_waitcnt lgkmcnt(0)
	s_barrier
	ds_read_b128 v[0:3], v164
	ds_read_b128 v[4:7], v164 offset:33840
	buffer_load_dword v14, off, s[24:27], 0 offset:20 ; 4-byte Folded Reload
	buffer_load_dword v15, off, s[24:27], 0 offset:24 ; 4-byte Folded Reload
	;; [unrolled: 1-line block ×4, first 2 shown]
	v_mov_b32_e32 v8, v33
	s_mov_b32 s2, 0x5a912e32
	s_mov_b32 s3, 0x3f3d208a
	v_mov_b32_e32 v24, s7
	s_waitcnt vmcnt(0) lgkmcnt(1)
	v_mul_f64 v[9:10], v[16:17], v[2:3]
	v_mad_u64_u32 v[11:12], s[0:1], s11, v172, v[8:9]
	v_mul_f64 v[12:13], v[16:17], v[0:1]
	v_fma_f64 v[0:1], v[14:15], v[0:1], v[9:10]
	buffer_load_dword v9, off, s[24:27], 0 offset:8 ; 4-byte Folded Reload
	v_mov_b32_e32 v33, v11
	v_lshlrev_b64 v[18:19], 4, v[32:33]
	v_fma_f64 v[2:3], v[14:15], v[2:3], -v[12:13]
	v_mul_f64 v[0:1], v[0:1], s[2:3]
	v_mul_f64 v[2:3], v[2:3], s[2:3]
	s_waitcnt vmcnt(0)
	v_mad_u64_u32 v[16:17], s[0:1], s8, v9, 0
	v_mov_b32_e32 v8, v17
	v_mad_u64_u32 v[12:13], s[0:1], s9, v9, v[8:9]
	ds_read_b128 v[8:11], v164 offset:3600
	v_add_co_u32_e64 v18, s[0:1], s6, v18
	v_mov_b32_e32 v17, v12
	ds_read_b128 v[12:15], v164 offset:1440
	buffer_load_dword v25, off, s[24:27], 0 offset:36 ; 4-byte Folded Reload
	buffer_load_dword v26, off, s[24:27], 0 offset:40 ; 4-byte Folded Reload
	;; [unrolled: 1-line block ×4, first 2 shown]
	v_lshlrev_b64 v[16:17], 4, v[16:17]
	v_addc_co_u32_e64 v19, s[0:1], v24, v19, s[0:1]
	v_add_co_u32_e64 v24, s[0:1], v18, v16
	s_waitcnt vmcnt(0) lgkmcnt(1)
	v_mul_f64 v[20:21], v[27:28], v[10:11]
	v_mul_f64 v[22:23], v[27:28], v[8:9]
	v_fma_f64 v[8:9], v[25:26], v[8:9], v[20:21]
	v_fma_f64 v[10:11], v[25:26], v[10:11], -v[22:23]
	v_addc_co_u32_e64 v25, s[0:1], v19, v17, s[0:1]
	global_store_dwordx4 v[24:25], v[0:3], off
	ds_read_b128 v[0:3], v164 offset:7200
	ds_read_b128 v[16:19], v164 offset:5040
	buffer_load_dword v30, off, s[24:27], 0 offset:52 ; 4-byte Folded Reload
	buffer_load_dword v31, off, s[24:27], 0 offset:56 ; 4-byte Folded Reload
	;; [unrolled: 1-line block ×4, first 2 shown]
	ds_read_b128 v[20:23], v164 offset:10800
	v_mul_f64 v[8:9], v[8:9], s[2:3]
	v_mul_f64 v[10:11], v[10:11], s[2:3]
	s_mul_i32 s0, s9, 0xe1
	s_mul_hi_u32 s1, s8, 0xe1
	s_add_i32 s1, s1, s0
	s_mul_i32 s0, s8, 0xe1
	s_lshl_b64 s[4:5], s[0:1], 4
	v_mov_b32_e32 v58, s5
	v_add_co_u32_e64 v34, s[0:1], s4, v24
	v_addc_co_u32_e64 v35, s[0:1], v25, v58, s[0:1]
	s_waitcnt vmcnt(0) lgkmcnt(2)
	v_mul_f64 v[26:27], v[32:33], v[2:3]
	v_mul_f64 v[28:29], v[32:33], v[0:1]
	v_fma_f64 v[26:27], v[30:31], v[0:1], v[26:27]
	v_fma_f64 v[28:29], v[30:31], v[2:3], -v[28:29]
	ds_read_b128 v[0:3], v164 offset:8640
	buffer_load_dword v36, off, s[24:27], 0 offset:68 ; 4-byte Folded Reload
	buffer_load_dword v37, off, s[24:27], 0 offset:72 ; 4-byte Folded Reload
	;; [unrolled: 1-line block ×4, first 2 shown]
	s_waitcnt vmcnt(0) lgkmcnt(1)
	v_mul_f64 v[30:31], v[38:39], v[22:23]
	v_mul_f64 v[32:33], v[38:39], v[20:21]
	global_store_dwordx4 v[34:35], v[8:11], off
	v_add_co_u32_e64 v34, s[0:1], s4, v34
	v_mul_f64 v[8:9], v[26:27], s[2:3]
	ds_read_b128 v[24:27], v164 offset:14400
	v_mul_f64 v[10:11], v[28:29], s[2:3]
	v_fma_f64 v[28:29], v[36:37], v[20:21], v[30:31]
	v_fma_f64 v[32:33], v[36:37], v[22:23], -v[32:33]
	ds_read_b128 v[20:23], v164 offset:12240
	buffer_load_dword v40, off, s[24:27], 0 offset:212 ; 4-byte Folded Reload
	buffer_load_dword v41, off, s[24:27], 0 offset:216 ; 4-byte Folded Reload
	;; [unrolled: 1-line block ×4, first 2 shown]
	v_addc_co_u32_e64 v35, s[0:1], v35, v58, s[0:1]
	global_store_dwordx4 v[34:35], v[8:11], off
	s_nop 0
	v_mul_f64 v[8:9], v[28:29], s[2:3]
	ds_read_b128 v[28:31], v164 offset:18000
	v_mul_f64 v[10:11], v[32:33], s[2:3]
	s_waitcnt vmcnt(1) lgkmcnt(2)
	v_mul_f64 v[36:37], v[42:43], v[26:27]
	v_mul_f64 v[38:39], v[42:43], v[24:25]
	v_add_co_u32_e64 v42, s[0:1], s4, v34
	v_addc_co_u32_e64 v43, s[0:1], v35, v58, s[0:1]
	v_fma_f64 v[32:33], v[40:41], v[24:25], v[36:37]
	v_fma_f64 v[36:37], v[40:41], v[26:27], -v[38:39]
	ds_read_b128 v[24:27], v164 offset:15840
	buffer_load_dword v44, off, s[24:27], 0 offset:164 ; 4-byte Folded Reload
	buffer_load_dword v45, off, s[24:27], 0 offset:168 ; 4-byte Folded Reload
	buffer_load_dword v46, off, s[24:27], 0 offset:172 ; 4-byte Folded Reload
	buffer_load_dword v47, off, s[24:27], 0 offset:176 ; 4-byte Folded Reload
	s_waitcnt vmcnt(0) lgkmcnt(1)
	v_mul_f64 v[38:39], v[46:47], v[30:31]
	v_mul_f64 v[40:41], v[46:47], v[28:29]
	global_store_dwordx4 v[42:43], v[8:11], off
	v_add_co_u32_e64 v42, s[0:1], s4, v42
	v_mul_f64 v[8:9], v[32:33], s[2:3]
	ds_read_b128 v[32:35], v164 offset:21600
	v_mul_f64 v[10:11], v[36:37], s[2:3]
	v_fma_f64 v[36:37], v[44:45], v[28:29], v[38:39]
	v_fma_f64 v[40:41], v[44:45], v[30:31], -v[40:41]
	ds_read_b128 v[28:31], v164 offset:19440
	buffer_load_dword v48, off, s[24:27], 0 offset:228 ; 4-byte Folded Reload
	buffer_load_dword v49, off, s[24:27], 0 offset:232 ; 4-byte Folded Reload
	buffer_load_dword v50, off, s[24:27], 0 offset:236 ; 4-byte Folded Reload
	buffer_load_dword v51, off, s[24:27], 0 offset:240 ; 4-byte Folded Reload
	v_addc_co_u32_e64 v43, s[0:1], v43, v58, s[0:1]
	global_store_dwordx4 v[42:43], v[8:11], off
	s_nop 0
	v_mul_f64 v[8:9], v[36:37], s[2:3]
	ds_read_b128 v[36:39], v164 offset:25200
	v_mul_f64 v[10:11], v[40:41], s[2:3]
	s_waitcnt vmcnt(1) lgkmcnt(2)
	v_mul_f64 v[44:45], v[50:51], v[34:35]
	v_mul_f64 v[46:47], v[50:51], v[32:33]
	v_add_co_u32_e64 v50, s[0:1], s4, v42
	v_addc_co_u32_e64 v51, s[0:1], v43, v58, s[0:1]
	v_fma_f64 v[40:41], v[48:49], v[32:33], v[44:45]
	v_fma_f64 v[44:45], v[48:49], v[34:35], -v[46:47]
	ds_read_b128 v[32:35], v164 offset:23040
	buffer_load_dword v52, off, s[24:27], 0 offset:196 ; 4-byte Folded Reload
	buffer_load_dword v53, off, s[24:27], 0 offset:200 ; 4-byte Folded Reload
	;; [unrolled: 1-line block ×4, first 2 shown]
	s_waitcnt vmcnt(0) lgkmcnt(1)
	v_mul_f64 v[46:47], v[54:55], v[38:39]
	v_mul_f64 v[48:49], v[54:55], v[36:37]
	global_store_dwordx4 v[50:51], v[8:11], off
	v_add_co_u32_e64 v50, s[0:1], s4, v50
	v_mul_f64 v[8:9], v[40:41], s[2:3]
	ds_read_b128 v[40:43], v164 offset:28800
	v_mul_f64 v[10:11], v[44:45], s[2:3]
	v_fma_f64 v[44:45], v[52:53], v[36:37], v[46:47]
	v_fma_f64 v[48:49], v[52:53], v[38:39], -v[48:49]
	ds_read_b128 v[36:39], v164 offset:26640
	buffer_load_dword v59, off, s[24:27], 0 offset:180 ; 4-byte Folded Reload
	buffer_load_dword v60, off, s[24:27], 0 offset:184 ; 4-byte Folded Reload
	;; [unrolled: 1-line block ×4, first 2 shown]
	v_addc_co_u32_e64 v51, s[0:1], v51, v58, s[0:1]
	global_store_dwordx4 v[50:51], v[8:11], off
	s_nop 0
	v_mul_f64 v[8:9], v[44:45], s[2:3]
	ds_read_b128 v[44:47], v164 offset:32400
	v_mul_f64 v[10:11], v[48:49], s[2:3]
	v_add_co_u32_e64 v50, s[0:1], s4, v50
	v_addc_co_u32_e64 v51, s[0:1], v51, v58, s[0:1]
	s_waitcnt vmcnt(1) lgkmcnt(2)
	v_mul_f64 v[52:53], v[61:62], v[42:43]
	v_mul_f64 v[54:55], v[61:62], v[40:41]
	v_fma_f64 v[48:49], v[59:60], v[40:41], v[52:53]
	v_fma_f64 v[52:53], v[59:60], v[42:43], -v[54:55]
	ds_read_b128 v[40:43], v164 offset:30240
	buffer_load_dword v59, off, s[24:27], 0 offset:132 ; 4-byte Folded Reload
	buffer_load_dword v60, off, s[24:27], 0 offset:136 ; 4-byte Folded Reload
	;; [unrolled: 1-line block ×4, first 2 shown]
	s_waitcnt vmcnt(0) lgkmcnt(1)
	v_mul_f64 v[54:55], v[61:62], v[46:47]
	v_mul_f64 v[56:57], v[61:62], v[44:45]
	global_store_dwordx4 v[50:51], v[8:11], off
	v_add_co_u32_e64 v50, s[0:1], s4, v50
	v_mul_f64 v[8:9], v[48:49], s[2:3]
	v_mul_f64 v[10:11], v[52:53], s[2:3]
	v_addc_co_u32_e64 v51, s[0:1], v51, v58, s[0:1]
	v_fma_f64 v[44:45], v[59:60], v[44:45], v[54:55]
	v_fma_f64 v[46:47], v[59:60], v[46:47], -v[56:57]
	buffer_load_dword v54, off, s[24:27], 0 offset:116 ; 4-byte Folded Reload
	buffer_load_dword v55, off, s[24:27], 0 offset:120 ; 4-byte Folded Reload
	;; [unrolled: 1-line block ×4, first 2 shown]
	v_mul_f64 v[44:45], v[44:45], s[2:3]
	v_mul_f64 v[46:47], v[46:47], s[2:3]
	global_store_dwordx4 v[50:51], v[8:11], off
	s_waitcnt vmcnt(1)
	v_mul_f64 v[48:49], v[56:57], v[14:15]
	v_mul_f64 v[52:53], v[56:57], v[12:13]
	v_fma_f64 v[12:13], v[54:55], v[12:13], v[48:49]
	v_add_co_u32_e64 v48, s[0:1], s4, v50
	v_addc_co_u32_e64 v49, s[0:1], v51, v58, s[0:1]
	global_store_dwordx4 v[48:49], v[44:47], off
	v_fma_f64 v[14:15], v[54:55], v[14:15], -v[52:53]
	buffer_load_dword v50, off, s[24:27], 0 offset:100 ; 4-byte Folded Reload
	buffer_load_dword v51, off, s[24:27], 0 offset:104 ; 4-byte Folded Reload
	;; [unrolled: 1-line block ×4, first 2 shown]
	v_mul_f64 v[8:9], v[12:13], s[2:3]
	s_mul_hi_u32 s1, s8, 0xfffff871
	s_mul_i32 s0, s9, 0xfffff871
	s_sub_i32 s1, s1, s8
	s_add_i32 s1, s1, s0
	s_mul_i32 s0, s8, 0xfffff871
	v_mul_f64 v[10:11], v[14:15], s[2:3]
	s_lshl_b64 s[6:7], s[0:1], 4
	v_mov_b32_e32 v45, s7
	v_add_co_u32_e64 v44, s[0:1], s6, v48
	v_addc_co_u32_e64 v45, s[0:1], v49, v45, s[0:1]
	s_waitcnt vmcnt(0)
	v_mul_f64 v[12:13], v[52:53], v[18:19]
	v_mul_f64 v[14:15], v[52:53], v[16:17]
	v_fma_f64 v[12:13], v[50:51], v[16:17], v[12:13]
	v_fma_f64 v[14:15], v[50:51], v[18:19], -v[14:15]
	buffer_load_dword v50, off, s[24:27], 0 offset:84 ; 4-byte Folded Reload
	buffer_load_dword v51, off, s[24:27], 0 offset:88 ; 4-byte Folded Reload
	;; [unrolled: 1-line block ×4, first 2 shown]
	s_waitcnt vmcnt(0)
	v_mul_f64 v[16:17], v[52:53], v[2:3]
	global_store_dwordx4 v[44:45], v[8:11], off
	buffer_load_dword v46, off, s[24:27], 0 offset:148 ; 4-byte Folded Reload
	buffer_load_dword v47, off, s[24:27], 0 offset:152 ; 4-byte Folded Reload
	;; [unrolled: 1-line block ×4, first 2 shown]
	v_mul_f64 v[8:9], v[12:13], s[2:3]
	v_mul_f64 v[10:11], v[14:15], s[2:3]
	;; [unrolled: 1-line block ×3, first 2 shown]
	v_fma_f64 v[0:1], v[50:51], v[0:1], v[16:17]
	v_add_co_u32_e64 v16, s[0:1], s4, v44
	v_addc_co_u32_e64 v17, s[0:1], v45, v58, s[0:1]
	global_store_dwordx4 v[16:17], v[8:11], off
	v_fma_f64 v[2:3], v[50:51], v[2:3], -v[18:19]
	v_add_co_u32_e64 v16, s[0:1], s4, v16
	v_mul_f64 v[0:1], v[0:1], s[2:3]
	v_addc_co_u32_e64 v17, s[0:1], v17, v58, s[0:1]
	v_mul_f64 v[2:3], v[2:3], s[2:3]
	s_waitcnt vmcnt(1)
	v_mul_f64 v[12:13], v[48:49], v[22:23]
	v_mul_f64 v[14:15], v[48:49], v[20:21]
	v_fma_f64 v[8:9], v[46:47], v[20:21], v[12:13]
	buffer_load_dword v18, off, s[24:27], 0 offset:244 ; 4-byte Folded Reload
	buffer_load_dword v19, off, s[24:27], 0 offset:248 ; 4-byte Folded Reload
	;; [unrolled: 1-line block ×4, first 2 shown]
	v_fma_f64 v[10:11], v[46:47], v[22:23], -v[14:15]
	global_store_dwordx4 v[16:17], v[0:3], off
	v_add_co_u32_e64 v16, s[0:1], s4, v16
	v_addc_co_u32_e64 v17, s[0:1], v17, v58, s[0:1]
	v_mul_f64 v[0:1], v[8:9], s[2:3]
	v_mul_f64 v[2:3], v[10:11], s[2:3]
	s_waitcnt vmcnt(1)
	v_mul_f64 v[12:13], v[20:21], v[26:27]
	v_mul_f64 v[14:15], v[20:21], v[24:25]
	v_fma_f64 v[8:9], v[18:19], v[24:25], v[12:13]
	v_fma_f64 v[10:11], v[18:19], v[26:27], -v[14:15]
	buffer_load_dword v18, off, s[24:27], 0 offset:260 ; 4-byte Folded Reload
	buffer_load_dword v19, off, s[24:27], 0 offset:264 ; 4-byte Folded Reload
	;; [unrolled: 1-line block ×4, first 2 shown]
	s_waitcnt vmcnt(0)
	v_mul_f64 v[12:13], v[20:21], v[30:31]
	v_mul_f64 v[14:15], v[20:21], v[28:29]
	global_store_dwordx4 v[16:17], v[0:3], off
	v_add_co_u32_e64 v16, s[0:1], s4, v16
	v_mul_f64 v[0:1], v[8:9], s[2:3]
	v_mul_f64 v[2:3], v[10:11], s[2:3]
	v_addc_co_u32_e64 v17, s[0:1], v17, v58, s[0:1]
	v_fma_f64 v[8:9], v[18:19], v[28:29], v[12:13]
	v_fma_f64 v[10:11], v[18:19], v[30:31], -v[14:15]
	buffer_load_dword v18, off, s[24:27], 0 offset:276 ; 4-byte Folded Reload
	buffer_load_dword v19, off, s[24:27], 0 offset:280 ; 4-byte Folded Reload
	buffer_load_dword v20, off, s[24:27], 0 offset:284 ; 4-byte Folded Reload
	buffer_load_dword v21, off, s[24:27], 0 offset:288 ; 4-byte Folded Reload
	s_waitcnt vmcnt(0)
	v_mul_f64 v[12:13], v[20:21], v[34:35]
	v_mul_f64 v[14:15], v[20:21], v[32:33]
	global_store_dwordx4 v[16:17], v[0:3], off
	v_add_co_u32_e64 v16, s[0:1], s4, v16
	v_mul_f64 v[0:1], v[8:9], s[2:3]
	v_mul_f64 v[2:3], v[10:11], s[2:3]
	v_addc_co_u32_e64 v17, s[0:1], v17, v58, s[0:1]
	v_fma_f64 v[8:9], v[18:19], v[32:33], v[12:13]
	v_fma_f64 v[10:11], v[18:19], v[34:35], -v[14:15]
	buffer_load_dword v18, off, s[24:27], 0 offset:292 ; 4-byte Folded Reload
	buffer_load_dword v19, off, s[24:27], 0 offset:296 ; 4-byte Folded Reload
	buffer_load_dword v20, off, s[24:27], 0 offset:300 ; 4-byte Folded Reload
	buffer_load_dword v21, off, s[24:27], 0 offset:304 ; 4-byte Folded Reload
	s_waitcnt vmcnt(0)
	v_mul_f64 v[12:13], v[20:21], v[38:39]
	global_store_dwordx4 v[16:17], v[0:3], off
	buffer_load_dword v22, off, s[24:27], 0 offset:308 ; 4-byte Folded Reload
	buffer_load_dword v23, off, s[24:27], 0 offset:312 ; 4-byte Folded Reload
	;; [unrolled: 1-line block ×4, first 2 shown]
	v_mul_f64 v[14:15], v[20:21], v[36:37]
	v_mul_f64 v[0:1], v[8:9], s[2:3]
	v_mul_f64 v[2:3], v[10:11], s[2:3]
	v_add_co_u32_e64 v16, s[0:1], s4, v16
	v_fma_f64 v[8:9], v[18:19], v[36:37], v[12:13]
	v_addc_co_u32_e64 v17, s[0:1], v17, v58, s[0:1]
	v_fma_f64 v[10:11], v[18:19], v[38:39], -v[14:15]
	s_waitcnt vmcnt(0) lgkmcnt(0)
	v_mul_f64 v[12:13], v[24:25], v[42:43]
	v_mul_f64 v[14:15], v[24:25], v[40:41]
	buffer_load_dword v24, off, s[24:27], 0 offset:324 ; 4-byte Folded Reload
	buffer_load_dword v25, off, s[24:27], 0 offset:328 ; 4-byte Folded Reload
	;; [unrolled: 1-line block ×4, first 2 shown]
	s_waitcnt vmcnt(0)
	v_mul_f64 v[18:19], v[26:27], v[6:7]
	v_mul_f64 v[20:21], v[26:27], v[4:5]
	global_store_dwordx4 v[16:17], v[0:3], off
	v_add_co_u32_e64 v16, s[0:1], s4, v16
	v_mul_f64 v[0:1], v[8:9], s[2:3]
	v_mul_f64 v[2:3], v[10:11], s[2:3]
	v_fma_f64 v[8:9], v[22:23], v[40:41], v[12:13]
	v_fma_f64 v[10:11], v[22:23], v[42:43], -v[14:15]
	v_fma_f64 v[12:13], v[24:25], v[4:5], v[18:19]
	v_fma_f64 v[14:15], v[24:25], v[6:7], -v[20:21]
	v_addc_co_u32_e64 v17, s[0:1], v17, v58, s[0:1]
	global_store_dwordx4 v[16:17], v[0:3], off
	v_mul_f64 v[4:5], v[8:9], s[2:3]
	v_mul_f64 v[6:7], v[10:11], s[2:3]
	;; [unrolled: 1-line block ×4, first 2 shown]
	v_add_co_u32_e64 v0, s[0:1], s4, v16
	v_addc_co_u32_e64 v1, s[0:1], v17, v58, s[0:1]
	global_store_dwordx4 v[0:1], v[4:7], off
	v_add_co_u32_e64 v0, s[0:1], s4, v0
	v_addc_co_u32_e64 v1, s[0:1], v1, v58, s[0:1]
	global_store_dwordx4 v[0:1], v[8:11], off
	s_and_b64 exec, exec, vcc
	s_cbranch_execz .LBB0_31
; %bb.30:
	buffer_load_dword v23, off, s[24:27], 0 ; 4-byte Folded Reload
	buffer_load_dword v24, off, s[24:27], 0 offset:4 ; 4-byte Folded Reload
	s_movk_i32 s0, 0x1000
	v_mov_b32_e32 v22, s5
	s_waitcnt vmcnt(0)
	global_load_dwordx4 v[2:5], v[23:24], off offset:2880
	ds_read_b128 v[6:9], v164 offset:2880
	ds_read_b128 v[10:13], v164 offset:35280
	s_waitcnt vmcnt(0) lgkmcnt(1)
	v_mul_f64 v[14:15], v[8:9], v[4:5]
	v_mul_f64 v[4:5], v[6:7], v[4:5]
	v_fma_f64 v[6:7], v[6:7], v[2:3], v[14:15]
	v_fma_f64 v[4:5], v[2:3], v[8:9], -v[4:5]
	v_mov_b32_e32 v9, s7
	v_add_co_u32_e32 v8, vcc, s6, v0
	v_addc_co_u32_e32 v9, vcc, v1, v9, vcc
	v_add_co_u32_e32 v0, vcc, s0, v23
	v_mul_f64 v[2:3], v[6:7], s[2:3]
	v_mul_f64 v[4:5], v[4:5], s[2:3]
	v_addc_co_u32_e32 v1, vcc, 0, v24, vcc
	s_movk_i32 s0, 0x2000
	global_store_dwordx4 v[8:9], v[2:5], off
	global_load_dwordx4 v[0:3], v[0:1], off offset:2384
	ds_read_b128 v[4:7], v164 offset:6480
	ds_read_b128 v[14:17], v164 offset:10080
	s_waitcnt vmcnt(0) lgkmcnt(1)
	v_mul_f64 v[18:19], v[6:7], v[2:3]
	v_mul_f64 v[2:3], v[4:5], v[2:3]
	v_fma_f64 v[4:5], v[4:5], v[0:1], v[18:19]
	v_fma_f64 v[2:3], v[0:1], v[6:7], -v[2:3]
	v_mul_f64 v[0:1], v[4:5], s[2:3]
	v_mul_f64 v[2:3], v[2:3], s[2:3]
	v_add_co_u32_e32 v4, vcc, s0, v23
	v_addc_co_u32_e32 v5, vcc, 0, v24, vcc
	v_add_co_u32_e32 v6, vcc, s4, v8
	v_addc_co_u32_e32 v7, vcc, v9, v22, vcc
	global_store_dwordx4 v[6:7], v[0:3], off
	global_load_dwordx4 v[0:3], v[4:5], off offset:1888
	s_movk_i32 s0, 0x3000
	s_waitcnt vmcnt(0) lgkmcnt(0)
	v_mul_f64 v[4:5], v[16:17], v[2:3]
	v_mul_f64 v[2:3], v[14:15], v[2:3]
	v_fma_f64 v[4:5], v[14:15], v[0:1], v[4:5]
	v_fma_f64 v[2:3], v[0:1], v[16:17], -v[2:3]
	v_mul_f64 v[0:1], v[4:5], s[2:3]
	v_mul_f64 v[2:3], v[2:3], s[2:3]
	v_add_co_u32_e32 v4, vcc, s0, v23
	v_addc_co_u32_e32 v5, vcc, 0, v24, vcc
	v_add_co_u32_e32 v8, vcc, s4, v6
	v_addc_co_u32_e32 v9, vcc, v7, v22, vcc
	global_store_dwordx4 v[8:9], v[0:3], off
	global_load_dwordx4 v[0:3], v[4:5], off offset:1392
	ds_read_b128 v[4:7], v164 offset:13680
	ds_read_b128 v[14:17], v164 offset:17280
	s_movk_i32 s0, 0x4000
	s_waitcnt vmcnt(0) lgkmcnt(1)
	v_mul_f64 v[18:19], v[6:7], v[2:3]
	v_mul_f64 v[2:3], v[4:5], v[2:3]
	v_fma_f64 v[4:5], v[4:5], v[0:1], v[18:19]
	v_fma_f64 v[2:3], v[0:1], v[6:7], -v[2:3]
	v_mul_f64 v[0:1], v[4:5], s[2:3]
	v_mul_f64 v[2:3], v[2:3], s[2:3]
	v_add_co_u32_e32 v4, vcc, s0, v23
	v_addc_co_u32_e32 v5, vcc, 0, v24, vcc
	v_add_co_u32_e32 v6, vcc, s4, v8
	v_addc_co_u32_e32 v7, vcc, v9, v22, vcc
	global_store_dwordx4 v[6:7], v[0:3], off
	global_load_dwordx4 v[0:3], v[4:5], off offset:896
	s_movk_i32 s0, 0x5000
	v_add_co_u32_e32 v8, vcc, s0, v23
	v_addc_co_u32_e32 v9, vcc, 0, v24, vcc
	v_add_co_u32_e32 v18, vcc, s4, v6
	v_addc_co_u32_e32 v19, vcc, v7, v22, vcc
	s_movk_i32 s0, 0x6000
	s_waitcnt vmcnt(0) lgkmcnt(0)
	v_mul_f64 v[4:5], v[16:17], v[2:3]
	v_mul_f64 v[2:3], v[14:15], v[2:3]
	v_fma_f64 v[4:5], v[14:15], v[0:1], v[4:5]
	v_fma_f64 v[2:3], v[0:1], v[16:17], -v[2:3]
	v_mul_f64 v[0:1], v[4:5], s[2:3]
	v_mul_f64 v[2:3], v[2:3], s[2:3]
	global_store_dwordx4 v[18:19], v[0:3], off
	global_load_dwordx4 v[0:3], v[8:9], off offset:400
	ds_read_b128 v[4:7], v164 offset:20880
	ds_read_b128 v[14:17], v164 offset:24480
	s_waitcnt vmcnt(0) lgkmcnt(1)
	v_mul_f64 v[20:21], v[6:7], v[2:3]
	v_mul_f64 v[2:3], v[4:5], v[2:3]
	v_fma_f64 v[4:5], v[4:5], v[0:1], v[20:21]
	v_fma_f64 v[2:3], v[0:1], v[6:7], -v[2:3]
	v_mul_f64 v[0:1], v[4:5], s[2:3]
	v_mul_f64 v[2:3], v[2:3], s[2:3]
	v_add_co_u32_e32 v4, vcc, s4, v18
	v_addc_co_u32_e32 v5, vcc, v19, v22, vcc
	global_store_dwordx4 v[4:5], v[0:3], off
	global_load_dwordx4 v[0:3], v[8:9], off offset:4000
	s_waitcnt vmcnt(0) lgkmcnt(0)
	v_mul_f64 v[6:7], v[16:17], v[2:3]
	v_mul_f64 v[2:3], v[14:15], v[2:3]
	v_fma_f64 v[6:7], v[14:15], v[0:1], v[6:7]
	v_fma_f64 v[2:3], v[0:1], v[16:17], -v[2:3]
	v_mul_f64 v[0:1], v[6:7], s[2:3]
	v_mul_f64 v[2:3], v[2:3], s[2:3]
	v_add_co_u32_e32 v6, vcc, s0, v23
	v_addc_co_u32_e32 v7, vcc, 0, v24, vcc
	v_add_co_u32_e32 v8, vcc, s4, v4
	v_addc_co_u32_e32 v9, vcc, v5, v22, vcc
	global_store_dwordx4 v[8:9], v[0:3], off
	global_load_dwordx4 v[0:3], v[6:7], off offset:3504
	ds_read_b128 v[4:7], v164 offset:28080
	ds_read_b128 v[14:17], v164 offset:31680
	s_movk_i32 s0, 0x7000
	s_waitcnt vmcnt(0) lgkmcnt(1)
	v_mul_f64 v[18:19], v[6:7], v[2:3]
	v_mul_f64 v[2:3], v[4:5], v[2:3]
	v_fma_f64 v[4:5], v[4:5], v[0:1], v[18:19]
	v_fma_f64 v[2:3], v[0:1], v[6:7], -v[2:3]
	v_mul_f64 v[0:1], v[4:5], s[2:3]
	v_mul_f64 v[2:3], v[2:3], s[2:3]
	v_add_co_u32_e32 v4, vcc, s0, v23
	v_addc_co_u32_e32 v5, vcc, 0, v24, vcc
	v_add_co_u32_e32 v6, vcc, s4, v8
	v_addc_co_u32_e32 v7, vcc, v9, v22, vcc
	global_store_dwordx4 v[6:7], v[0:3], off
	global_load_dwordx4 v[0:3], v[4:5], off offset:3008
	s_mov_b32 s0, 0x8000
	s_waitcnt vmcnt(0) lgkmcnt(0)
	v_mul_f64 v[4:5], v[16:17], v[2:3]
	v_mul_f64 v[2:3], v[14:15], v[2:3]
	v_fma_f64 v[4:5], v[14:15], v[0:1], v[4:5]
	v_fma_f64 v[2:3], v[0:1], v[16:17], -v[2:3]
	v_mul_f64 v[0:1], v[4:5], s[2:3]
	v_mul_f64 v[2:3], v[2:3], s[2:3]
	v_add_co_u32_e32 v4, vcc, s0, v23
	v_addc_co_u32_e32 v5, vcc, 0, v24, vcc
	v_add_co_u32_e32 v6, vcc, s4, v6
	v_addc_co_u32_e32 v7, vcc, v7, v22, vcc
	global_store_dwordx4 v[6:7], v[0:3], off
	global_load_dwordx4 v[0:3], v[4:5], off offset:2512
	s_waitcnt vmcnt(0)
	v_mul_f64 v[4:5], v[12:13], v[2:3]
	v_mul_f64 v[2:3], v[10:11], v[2:3]
	v_fma_f64 v[4:5], v[10:11], v[0:1], v[4:5]
	v_fma_f64 v[2:3], v[0:1], v[12:13], -v[2:3]
	v_mul_f64 v[0:1], v[4:5], s[2:3]
	v_mul_f64 v[2:3], v[2:3], s[2:3]
	v_add_co_u32_e32 v4, vcc, s4, v6
	v_addc_co_u32_e32 v5, vcc, v7, v22, vcc
	global_store_dwordx4 v[4:5], v[0:3], off
.LBB0_31:
	s_endpgm
	.section	.rodata,"a",@progbits
	.p2align	6, 0x0
	.amdhsa_kernel bluestein_single_fwd_len2250_dim1_dp_op_CI_CI
		.amdhsa_group_segment_fixed_size 36000
		.amdhsa_private_segment_fixed_size 1336
		.amdhsa_kernarg_size 104
		.amdhsa_user_sgpr_count 6
		.amdhsa_user_sgpr_private_segment_buffer 1
		.amdhsa_user_sgpr_dispatch_ptr 0
		.amdhsa_user_sgpr_queue_ptr 0
		.amdhsa_user_sgpr_kernarg_segment_ptr 1
		.amdhsa_user_sgpr_dispatch_id 0
		.amdhsa_user_sgpr_flat_scratch_init 0
		.amdhsa_user_sgpr_private_segment_size 0
		.amdhsa_uses_dynamic_stack 0
		.amdhsa_system_sgpr_private_segment_wavefront_offset 1
		.amdhsa_system_sgpr_workgroup_id_x 1
		.amdhsa_system_sgpr_workgroup_id_y 0
		.amdhsa_system_sgpr_workgroup_id_z 0
		.amdhsa_system_sgpr_workgroup_info 0
		.amdhsa_system_vgpr_workitem_id 0
		.amdhsa_next_free_vgpr 256
		.amdhsa_next_free_sgpr 28
		.amdhsa_reserve_vcc 1
		.amdhsa_reserve_flat_scratch 0
		.amdhsa_float_round_mode_32 0
		.amdhsa_float_round_mode_16_64 0
		.amdhsa_float_denorm_mode_32 3
		.amdhsa_float_denorm_mode_16_64 3
		.amdhsa_dx10_clamp 1
		.amdhsa_ieee_mode 1
		.amdhsa_fp16_overflow 0
		.amdhsa_exception_fp_ieee_invalid_op 0
		.amdhsa_exception_fp_denorm_src 0
		.amdhsa_exception_fp_ieee_div_zero 0
		.amdhsa_exception_fp_ieee_overflow 0
		.amdhsa_exception_fp_ieee_underflow 0
		.amdhsa_exception_fp_ieee_inexact 0
		.amdhsa_exception_int_div_zero 0
	.end_amdhsa_kernel
	.text
.Lfunc_end0:
	.size	bluestein_single_fwd_len2250_dim1_dp_op_CI_CI, .Lfunc_end0-bluestein_single_fwd_len2250_dim1_dp_op_CI_CI
                                        ; -- End function
	.section	.AMDGPU.csdata,"",@progbits
; Kernel info:
; codeLenInByte = 46228
; NumSgprs: 32
; NumVgprs: 256
; ScratchSize: 1336
; MemoryBound: 0
; FloatMode: 240
; IeeeMode: 1
; LDSByteSize: 36000 bytes/workgroup (compile time only)
; SGPRBlocks: 3
; VGPRBlocks: 63
; NumSGPRsForWavesPerEU: 32
; NumVGPRsForWavesPerEU: 256
; Occupancy: 1
; WaveLimiterHint : 1
; COMPUTE_PGM_RSRC2:SCRATCH_EN: 1
; COMPUTE_PGM_RSRC2:USER_SGPR: 6
; COMPUTE_PGM_RSRC2:TRAP_HANDLER: 0
; COMPUTE_PGM_RSRC2:TGID_X_EN: 1
; COMPUTE_PGM_RSRC2:TGID_Y_EN: 0
; COMPUTE_PGM_RSRC2:TGID_Z_EN: 0
; COMPUTE_PGM_RSRC2:TIDIG_COMP_CNT: 0
	.type	__hip_cuid_a6c72fe4583524fe,@object ; @__hip_cuid_a6c72fe4583524fe
	.section	.bss,"aw",@nobits
	.globl	__hip_cuid_a6c72fe4583524fe
__hip_cuid_a6c72fe4583524fe:
	.byte	0                               ; 0x0
	.size	__hip_cuid_a6c72fe4583524fe, 1

	.ident	"AMD clang version 19.0.0git (https://github.com/RadeonOpenCompute/llvm-project roc-6.4.0 25133 c7fe45cf4b819c5991fe208aaa96edf142730f1d)"
	.section	".note.GNU-stack","",@progbits
	.addrsig
	.addrsig_sym __hip_cuid_a6c72fe4583524fe
	.amdgpu_metadata
---
amdhsa.kernels:
  - .args:
      - .actual_access:  read_only
        .address_space:  global
        .offset:         0
        .size:           8
        .value_kind:     global_buffer
      - .actual_access:  read_only
        .address_space:  global
        .offset:         8
        .size:           8
        .value_kind:     global_buffer
      - .actual_access:  read_only
        .address_space:  global
        .offset:         16
        .size:           8
        .value_kind:     global_buffer
      - .actual_access:  read_only
        .address_space:  global
        .offset:         24
        .size:           8
        .value_kind:     global_buffer
      - .actual_access:  read_only
        .address_space:  global
        .offset:         32
        .size:           8
        .value_kind:     global_buffer
      - .offset:         40
        .size:           8
        .value_kind:     by_value
      - .address_space:  global
        .offset:         48
        .size:           8
        .value_kind:     global_buffer
      - .address_space:  global
        .offset:         56
        .size:           8
        .value_kind:     global_buffer
      - .address_space:  global
        .offset:         64
        .size:           8
        .value_kind:     global_buffer
      - .address_space:  global
        .offset:         72
        .size:           8
        .value_kind:     global_buffer
      - .offset:         80
        .size:           4
        .value_kind:     by_value
      - .address_space:  global
        .offset:         88
        .size:           8
        .value_kind:     global_buffer
      - .address_space:  global
        .offset:         96
        .size:           8
        .value_kind:     global_buffer
    .group_segment_fixed_size: 36000
    .kernarg_segment_align: 8
    .kernarg_segment_size: 104
    .language:       OpenCL C
    .language_version:
      - 2
      - 0
    .max_flat_workgroup_size: 90
    .name:           bluestein_single_fwd_len2250_dim1_dp_op_CI_CI
    .private_segment_fixed_size: 1336
    .sgpr_count:     32
    .sgpr_spill_count: 0
    .symbol:         bluestein_single_fwd_len2250_dim1_dp_op_CI_CI.kd
    .uniform_work_group_size: 1
    .uses_dynamic_stack: false
    .vgpr_count:     256
    .vgpr_spill_count: 333
    .wavefront_size: 64
amdhsa.target:   amdgcn-amd-amdhsa--gfx906
amdhsa.version:
  - 1
  - 2
...

	.end_amdgpu_metadata
